;; amdgpu-corpus repo=LLNL/RAJAPerf kind=compiled arch=gfx1250 opt=O3
	.amdgcn_target "amdgcn-amd-amdhsa--gfx1250"
	.amdhsa_code_object_version 6
	.section	.text._ZN8rajaperf9polybench13poly_gemver_1ILm32ELm8EEEvPdS2_S2_S2_S2_l,"axG",@progbits,_ZN8rajaperf9polybench13poly_gemver_1ILm32ELm8EEEvPdS2_S2_S2_S2_l,comdat
	.protected	_ZN8rajaperf9polybench13poly_gemver_1ILm32ELm8EEEvPdS2_S2_S2_S2_l ; -- Begin function _ZN8rajaperf9polybench13poly_gemver_1ILm32ELm8EEEvPdS2_S2_S2_S2_l
	.globl	_ZN8rajaperf9polybench13poly_gemver_1ILm32ELm8EEEvPdS2_S2_S2_S2_l
	.p2align	8
	.type	_ZN8rajaperf9polybench13poly_gemver_1ILm32ELm8EEEvPdS2_S2_S2_S2_l,@function
_ZN8rajaperf9polybench13poly_gemver_1ILm32ELm8EEEvPdS2_S2_S2_S2_l: ; @_ZN8rajaperf9polybench13poly_gemver_1ILm32ELm8EEEvPdS2_S2_S2_S2_l
; %bb.0:
	s_bfe_u32 s3, ttmp6, 0x4000c
	s_bfe_u32 s4, ttmp6, 0x40010
	s_add_co_i32 s3, s3, 1
	s_add_co_i32 s4, s4, 1
	s_and_b32 s2, ttmp6, 15
	s_mul_i32 s3, ttmp9, s3
	s_mul_i32 s4, ttmp7, s4
	s_bfe_u32 s5, ttmp6, 0x40004
	s_add_co_i32 s6, s2, s3
	s_getreg_b32 s2, hwreg(HW_REG_IB_STS2, 6, 4)
	s_add_co_i32 s5, s5, s4
	v_bfe_u32 v4, v0, 10, 10
	v_mov_b32_e32 v5, 0
	s_cmp_eq_u32 s2, 0
	s_mov_b32 s3, 0
	s_cselect_b32 s2, ttmp7, s5
	s_delay_alu instid0(VALU_DEP_1) | instid1(SALU_CYCLE_1)
	v_lshl_add_u64 v[2:3], s[2:3], 3, v[4:5]
	v_and_b32_e32 v4, 0x3ff, v0
	s_cselect_b32 s2, ttmp9, s6
	s_load_b128 s[4:7], s[0:1], 0x20
	s_lshl_b64 s[2:3], s[2:3], 5
	s_delay_alu instid0(VALU_DEP_1) | instid1(SALU_CYCLE_1)
	v_add_nc_u64_e32 v[0:1], s[2:3], v[4:5]
	s_mov_b32 s2, exec_lo
	s_delay_alu instid0(VALU_DEP_1) | instskip(SKIP_1) | instid1(VALU_DEP_1)
	v_max_i64 v[4:5], v[2:3], v[0:1]
	s_wait_kmcnt 0x0
	v_cmpx_gt_i64_e64 s[6:7], v[4:5]
	s_cbranch_execz .LBB0_2
; %bb.1:
	s_load_b256 s[8:15], s[0:1], 0x0
	v_lshlrev_b64_e32 v[4:5], 3, v[2:3]
	v_lshlrev_b64_e32 v[0:1], 3, v[0:1]
	v_mul_u64_e32 v[2:3], s[6:7], v[2:3]
	s_delay_alu instid0(VALU_DEP_2) | instskip(SKIP_1) | instid1(VALU_DEP_4)
	v_add_nc_u64_e32 v[8:9], s[4:5], v[0:1]
	s_wait_kmcnt 0x0
	v_add_nc_u64_e32 v[6:7], s[14:15], v[4:5]
	v_add_nc_u64_e32 v[4:5], s[10:11], v[4:5]
	global_load_b64 v[10:11], v[6:7], off
	global_load_b64 v[12:13], v[8:9], off
	s_wait_xcnt 0x1
	v_add_nc_u64_e32 v[6:7], s[12:13], v[0:1]
	v_add_nc_u64_e32 v[0:1], s[8:9], v[0:1]
	global_load_b64 v[8:9], v[4:5], off
	global_load_b64 v[14:15], v[6:7], off
	v_lshl_add_u64 v[0:1], v[2:3], 3, v[0:1]
	global_load_b64 v[2:3], v[0:1], off
	s_wait_loadcnt 0x3
	s_wait_xcnt 0x2
	v_mul_f64_e32 v[4:5], v[10:11], v[12:13]
	s_wait_loadcnt 0x1
	s_delay_alu instid0(VALU_DEP_1) | instskip(SKIP_1) | instid1(VALU_DEP_1)
	v_fmac_f64_e32 v[4:5], v[8:9], v[14:15]
	s_wait_loadcnt 0x0
	v_add_f64_e32 v[2:3], v[2:3], v[4:5]
	global_store_b64 v[0:1], v[2:3], off
.LBB0_2:
	s_endpgm
	.section	.rodata,"a",@progbits
	.p2align	6, 0x0
	.amdhsa_kernel _ZN8rajaperf9polybench13poly_gemver_1ILm32ELm8EEEvPdS2_S2_S2_S2_l
		.amdhsa_group_segment_fixed_size 0
		.amdhsa_private_segment_fixed_size 0
		.amdhsa_kernarg_size 48
		.amdhsa_user_sgpr_count 2
		.amdhsa_user_sgpr_dispatch_ptr 0
		.amdhsa_user_sgpr_queue_ptr 0
		.amdhsa_user_sgpr_kernarg_segment_ptr 1
		.amdhsa_user_sgpr_dispatch_id 0
		.amdhsa_user_sgpr_kernarg_preload_length 0
		.amdhsa_user_sgpr_kernarg_preload_offset 0
		.amdhsa_user_sgpr_private_segment_size 0
		.amdhsa_wavefront_size32 1
		.amdhsa_uses_dynamic_stack 0
		.amdhsa_enable_private_segment 0
		.amdhsa_system_sgpr_workgroup_id_x 1
		.amdhsa_system_sgpr_workgroup_id_y 1
		.amdhsa_system_sgpr_workgroup_id_z 0
		.amdhsa_system_sgpr_workgroup_info 0
		.amdhsa_system_vgpr_workitem_id 1
		.amdhsa_next_free_vgpr 16
		.amdhsa_next_free_sgpr 16
		.amdhsa_named_barrier_count 0
		.amdhsa_reserve_vcc 0
		.amdhsa_float_round_mode_32 0
		.amdhsa_float_round_mode_16_64 0
		.amdhsa_float_denorm_mode_32 3
		.amdhsa_float_denorm_mode_16_64 3
		.amdhsa_fp16_overflow 0
		.amdhsa_memory_ordered 1
		.amdhsa_forward_progress 1
		.amdhsa_inst_pref_size 3
		.amdhsa_round_robin_scheduling 0
		.amdhsa_exception_fp_ieee_invalid_op 0
		.amdhsa_exception_fp_denorm_src 0
		.amdhsa_exception_fp_ieee_div_zero 0
		.amdhsa_exception_fp_ieee_overflow 0
		.amdhsa_exception_fp_ieee_underflow 0
		.amdhsa_exception_fp_ieee_inexact 0
		.amdhsa_exception_int_div_zero 0
	.end_amdhsa_kernel
	.section	.text._ZN8rajaperf9polybench13poly_gemver_1ILm32ELm8EEEvPdS2_S2_S2_S2_l,"axG",@progbits,_ZN8rajaperf9polybench13poly_gemver_1ILm32ELm8EEEvPdS2_S2_S2_S2_l,comdat
.Lfunc_end0:
	.size	_ZN8rajaperf9polybench13poly_gemver_1ILm32ELm8EEEvPdS2_S2_S2_S2_l, .Lfunc_end0-_ZN8rajaperf9polybench13poly_gemver_1ILm32ELm8EEEvPdS2_S2_S2_S2_l
                                        ; -- End function
	.set _ZN8rajaperf9polybench13poly_gemver_1ILm32ELm8EEEvPdS2_S2_S2_S2_l.num_vgpr, 16
	.set _ZN8rajaperf9polybench13poly_gemver_1ILm32ELm8EEEvPdS2_S2_S2_S2_l.num_agpr, 0
	.set _ZN8rajaperf9polybench13poly_gemver_1ILm32ELm8EEEvPdS2_S2_S2_S2_l.numbered_sgpr, 16
	.set _ZN8rajaperf9polybench13poly_gemver_1ILm32ELm8EEEvPdS2_S2_S2_S2_l.num_named_barrier, 0
	.set _ZN8rajaperf9polybench13poly_gemver_1ILm32ELm8EEEvPdS2_S2_S2_S2_l.private_seg_size, 0
	.set _ZN8rajaperf9polybench13poly_gemver_1ILm32ELm8EEEvPdS2_S2_S2_S2_l.uses_vcc, 0
	.set _ZN8rajaperf9polybench13poly_gemver_1ILm32ELm8EEEvPdS2_S2_S2_S2_l.uses_flat_scratch, 0
	.set _ZN8rajaperf9polybench13poly_gemver_1ILm32ELm8EEEvPdS2_S2_S2_S2_l.has_dyn_sized_stack, 0
	.set _ZN8rajaperf9polybench13poly_gemver_1ILm32ELm8EEEvPdS2_S2_S2_S2_l.has_recursion, 0
	.set _ZN8rajaperf9polybench13poly_gemver_1ILm32ELm8EEEvPdS2_S2_S2_S2_l.has_indirect_call, 0
	.section	.AMDGPU.csdata,"",@progbits
; Kernel info:
; codeLenInByte = 324
; TotalNumSgprs: 16
; NumVgprs: 16
; ScratchSize: 0
; MemoryBound: 0
; FloatMode: 240
; IeeeMode: 1
; LDSByteSize: 0 bytes/workgroup (compile time only)
; SGPRBlocks: 0
; VGPRBlocks: 0
; NumSGPRsForWavesPerEU: 16
; NumVGPRsForWavesPerEU: 16
; NamedBarCnt: 0
; Occupancy: 16
; WaveLimiterHint : 0
; COMPUTE_PGM_RSRC2:SCRATCH_EN: 0
; COMPUTE_PGM_RSRC2:USER_SGPR: 2
; COMPUTE_PGM_RSRC2:TRAP_HANDLER: 0
; COMPUTE_PGM_RSRC2:TGID_X_EN: 1
; COMPUTE_PGM_RSRC2:TGID_Y_EN: 1
; COMPUTE_PGM_RSRC2:TGID_Z_EN: 0
; COMPUTE_PGM_RSRC2:TIDIG_COMP_CNT: 1
	.section	.text._ZN8rajaperf9polybench13poly_gemver_2ILm256EEEvPdS2_S2_dl,"axG",@progbits,_ZN8rajaperf9polybench13poly_gemver_2ILm256EEEvPdS2_S2_dl,comdat
	.protected	_ZN8rajaperf9polybench13poly_gemver_2ILm256EEEvPdS2_S2_dl ; -- Begin function _ZN8rajaperf9polybench13poly_gemver_2ILm256EEEvPdS2_S2_dl
	.globl	_ZN8rajaperf9polybench13poly_gemver_2ILm256EEEvPdS2_S2_dl
	.p2align	8
	.type	_ZN8rajaperf9polybench13poly_gemver_2ILm256EEEvPdS2_S2_dl,@function
_ZN8rajaperf9polybench13poly_gemver_2ILm256EEEvPdS2_S2_dl: ; @_ZN8rajaperf9polybench13poly_gemver_2ILm256EEEvPdS2_S2_dl
; %bb.0:
	s_load_b64 s[2:3], s[0:1], 0x20
	s_bfe_u32 s4, ttmp6, 0x4000c
	s_and_b32 s5, ttmp6, 15
	s_add_co_i32 s4, s4, 1
	s_getreg_b32 s6, hwreg(HW_REG_IB_STS2, 6, 4)
	s_mul_i32 s4, ttmp9, s4
	s_delay_alu instid0(SALU_CYCLE_1) | instskip(SKIP_3) | instid1(SALU_CYCLE_1)
	s_add_co_i32 s4, s5, s4
	s_cmp_eq_u32 s6, 0
	s_mov_b32 s5, 0
	s_cselect_b32 s4, ttmp9, s4
	s_lshl_b64 s[4:5], s[4:5], 8
	s_delay_alu instid0(SALU_CYCLE_1) | instskip(SKIP_2) | instid1(VALU_DEP_1)
	v_dual_mov_b32 v1, s5 :: v_dual_bitop2_b32 v0, s4, v0 bitop3:0x54
	s_mov_b32 s4, exec_lo
	s_wait_kmcnt 0x0
	v_cmpx_gt_i64_e64 s[2:3], v[0:1]
	s_cbranch_execz .LBB1_4
; %bb.1:
	s_load_b256 s[4:11], s[0:1], 0x0
	v_mov_b64_e32 v[2:3], 0
	s_wait_xcnt 0x0
	s_lshl_b64 s[0:1], s[2:3], 3
	s_wait_kmcnt 0x0
	v_lshl_add_u64 v[4:5], v[0:1], 3, s[4:5]
.LBB1_2:                                ; =>This Inner Loop Header: Depth=1
	global_load_b64 v[6:7], v[4:5], off
	s_load_b64 s[4:5], s[8:9], 0x0
	v_add_nc_u64_e32 v[4:5], s[0:1], v[4:5]
	s_add_nc_u64 s[2:3], s[2:3], -1
	s_wait_xcnt 0x0
	s_add_nc_u64 s[8:9], s[8:9], 8
	s_cmp_eq_u64 s[2:3], 0
	s_wait_loadcnt 0x0
	v_mul_f64_e32 v[6:7], s[10:11], v[6:7]
	s_wait_kmcnt 0x0
	s_delay_alu instid0(VALU_DEP_1)
	v_fmac_f64_e32 v[2:3], s[4:5], v[6:7]
	s_cbranch_scc0 .LBB1_2
; %bb.3:
	v_lshl_add_u64 v[0:1], v[0:1], 3, s[6:7]
	global_store_b64 v[0:1], v[2:3], off
.LBB1_4:
	s_endpgm
	.section	.rodata,"a",@progbits
	.p2align	6, 0x0
	.amdhsa_kernel _ZN8rajaperf9polybench13poly_gemver_2ILm256EEEvPdS2_S2_dl
		.amdhsa_group_segment_fixed_size 0
		.amdhsa_private_segment_fixed_size 0
		.amdhsa_kernarg_size 40
		.amdhsa_user_sgpr_count 2
		.amdhsa_user_sgpr_dispatch_ptr 0
		.amdhsa_user_sgpr_queue_ptr 0
		.amdhsa_user_sgpr_kernarg_segment_ptr 1
		.amdhsa_user_sgpr_dispatch_id 0
		.amdhsa_user_sgpr_kernarg_preload_length 0
		.amdhsa_user_sgpr_kernarg_preload_offset 0
		.amdhsa_user_sgpr_private_segment_size 0
		.amdhsa_wavefront_size32 1
		.amdhsa_uses_dynamic_stack 0
		.amdhsa_enable_private_segment 0
		.amdhsa_system_sgpr_workgroup_id_x 1
		.amdhsa_system_sgpr_workgroup_id_y 0
		.amdhsa_system_sgpr_workgroup_id_z 0
		.amdhsa_system_sgpr_workgroup_info 0
		.amdhsa_system_vgpr_workitem_id 0
		.amdhsa_next_free_vgpr 8
		.amdhsa_next_free_sgpr 12
		.amdhsa_named_barrier_count 0
		.amdhsa_reserve_vcc 0
		.amdhsa_float_round_mode_32 0
		.amdhsa_float_round_mode_16_64 0
		.amdhsa_float_denorm_mode_32 3
		.amdhsa_float_denorm_mode_16_64 3
		.amdhsa_fp16_overflow 0
		.amdhsa_memory_ordered 1
		.amdhsa_forward_progress 1
		.amdhsa_inst_pref_size 2
		.amdhsa_round_robin_scheduling 0
		.amdhsa_exception_fp_ieee_invalid_op 0
		.amdhsa_exception_fp_denorm_src 0
		.amdhsa_exception_fp_ieee_div_zero 0
		.amdhsa_exception_fp_ieee_overflow 0
		.amdhsa_exception_fp_ieee_underflow 0
		.amdhsa_exception_fp_ieee_inexact 0
		.amdhsa_exception_int_div_zero 0
	.end_amdhsa_kernel
	.section	.text._ZN8rajaperf9polybench13poly_gemver_2ILm256EEEvPdS2_S2_dl,"axG",@progbits,_ZN8rajaperf9polybench13poly_gemver_2ILm256EEEvPdS2_S2_dl,comdat
.Lfunc_end1:
	.size	_ZN8rajaperf9polybench13poly_gemver_2ILm256EEEvPdS2_S2_dl, .Lfunc_end1-_ZN8rajaperf9polybench13poly_gemver_2ILm256EEEvPdS2_S2_dl
                                        ; -- End function
	.set _ZN8rajaperf9polybench13poly_gemver_2ILm256EEEvPdS2_S2_dl.num_vgpr, 8
	.set _ZN8rajaperf9polybench13poly_gemver_2ILm256EEEvPdS2_S2_dl.num_agpr, 0
	.set _ZN8rajaperf9polybench13poly_gemver_2ILm256EEEvPdS2_S2_dl.numbered_sgpr, 12
	.set _ZN8rajaperf9polybench13poly_gemver_2ILm256EEEvPdS2_S2_dl.num_named_barrier, 0
	.set _ZN8rajaperf9polybench13poly_gemver_2ILm256EEEvPdS2_S2_dl.private_seg_size, 0
	.set _ZN8rajaperf9polybench13poly_gemver_2ILm256EEEvPdS2_S2_dl.uses_vcc, 0
	.set _ZN8rajaperf9polybench13poly_gemver_2ILm256EEEvPdS2_S2_dl.uses_flat_scratch, 0
	.set _ZN8rajaperf9polybench13poly_gemver_2ILm256EEEvPdS2_S2_dl.has_dyn_sized_stack, 0
	.set _ZN8rajaperf9polybench13poly_gemver_2ILm256EEEvPdS2_S2_dl.has_recursion, 0
	.set _ZN8rajaperf9polybench13poly_gemver_2ILm256EEEvPdS2_S2_dl.has_indirect_call, 0
	.section	.AMDGPU.csdata,"",@progbits
; Kernel info:
; codeLenInByte = 212
; TotalNumSgprs: 12
; NumVgprs: 8
; ScratchSize: 0
; MemoryBound: 0
; FloatMode: 240
; IeeeMode: 1
; LDSByteSize: 0 bytes/workgroup (compile time only)
; SGPRBlocks: 0
; VGPRBlocks: 0
; NumSGPRsForWavesPerEU: 12
; NumVGPRsForWavesPerEU: 8
; NamedBarCnt: 0
; Occupancy: 16
; WaveLimiterHint : 0
; COMPUTE_PGM_RSRC2:SCRATCH_EN: 0
; COMPUTE_PGM_RSRC2:USER_SGPR: 2
; COMPUTE_PGM_RSRC2:TRAP_HANDLER: 0
; COMPUTE_PGM_RSRC2:TGID_X_EN: 1
; COMPUTE_PGM_RSRC2:TGID_Y_EN: 0
; COMPUTE_PGM_RSRC2:TGID_Z_EN: 0
; COMPUTE_PGM_RSRC2:TIDIG_COMP_CNT: 0
	.section	.text._ZN8rajaperf9polybench13poly_gemver_3ILm256EEEvPdS2_l,"axG",@progbits,_ZN8rajaperf9polybench13poly_gemver_3ILm256EEEvPdS2_l,comdat
	.protected	_ZN8rajaperf9polybench13poly_gemver_3ILm256EEEvPdS2_l ; -- Begin function _ZN8rajaperf9polybench13poly_gemver_3ILm256EEEvPdS2_l
	.globl	_ZN8rajaperf9polybench13poly_gemver_3ILm256EEEvPdS2_l
	.p2align	8
	.type	_ZN8rajaperf9polybench13poly_gemver_3ILm256EEEvPdS2_l,@function
_ZN8rajaperf9polybench13poly_gemver_3ILm256EEEvPdS2_l: ; @_ZN8rajaperf9polybench13poly_gemver_3ILm256EEEvPdS2_l
; %bb.0:
	s_load_b64 s[2:3], s[0:1], 0x10
	s_bfe_u32 s4, ttmp6, 0x4000c
	s_and_b32 s5, ttmp6, 15
	s_add_co_i32 s4, s4, 1
	s_getreg_b32 s6, hwreg(HW_REG_IB_STS2, 6, 4)
	s_mul_i32 s4, ttmp9, s4
	s_delay_alu instid0(SALU_CYCLE_1) | instskip(SKIP_3) | instid1(SALU_CYCLE_1)
	s_add_co_i32 s4, s5, s4
	s_cmp_eq_u32 s6, 0
	s_mov_b32 s5, 0
	s_cselect_b32 s4, ttmp9, s4
	s_lshl_b64 s[4:5], s[4:5], 8
	s_delay_alu instid0(SALU_CYCLE_1) | instskip(SKIP_1) | instid1(VALU_DEP_1)
	v_dual_mov_b32 v1, s5 :: v_dual_bitop2_b32 v0, s4, v0 bitop3:0x54
	s_wait_kmcnt 0x0
	v_cmp_gt_i64_e32 vcc_lo, s[2:3], v[0:1]
	s_and_saveexec_b32 s2, vcc_lo
	s_cbranch_execz .LBB2_2
; %bb.1:
	s_load_b128 s[0:3], s[0:1], 0x0
	v_lshlrev_b64_e32 v[0:1], 3, v[0:1]
	s_wait_kmcnt 0x0
	s_delay_alu instid0(VALU_DEP_1)
	v_add_nc_u64_e32 v[2:3], s[2:3], v[0:1]
	v_add_nc_u64_e32 v[0:1], s[0:1], v[0:1]
	global_load_b64 v[4:5], v[2:3], off
	global_load_b64 v[6:7], v[0:1], off
	s_wait_loadcnt 0x0
	v_add_f64_e32 v[2:3], v[4:5], v[6:7]
	global_store_b64 v[0:1], v[2:3], off
.LBB2_2:
	s_endpgm
	.section	.rodata,"a",@progbits
	.p2align	6, 0x0
	.amdhsa_kernel _ZN8rajaperf9polybench13poly_gemver_3ILm256EEEvPdS2_l
		.amdhsa_group_segment_fixed_size 0
		.amdhsa_private_segment_fixed_size 0
		.amdhsa_kernarg_size 24
		.amdhsa_user_sgpr_count 2
		.amdhsa_user_sgpr_dispatch_ptr 0
		.amdhsa_user_sgpr_queue_ptr 0
		.amdhsa_user_sgpr_kernarg_segment_ptr 1
		.amdhsa_user_sgpr_dispatch_id 0
		.amdhsa_user_sgpr_kernarg_preload_length 0
		.amdhsa_user_sgpr_kernarg_preload_offset 0
		.amdhsa_user_sgpr_private_segment_size 0
		.amdhsa_wavefront_size32 1
		.amdhsa_uses_dynamic_stack 0
		.amdhsa_enable_private_segment 0
		.amdhsa_system_sgpr_workgroup_id_x 1
		.amdhsa_system_sgpr_workgroup_id_y 0
		.amdhsa_system_sgpr_workgroup_id_z 0
		.amdhsa_system_sgpr_workgroup_info 0
		.amdhsa_system_vgpr_workitem_id 0
		.amdhsa_next_free_vgpr 8
		.amdhsa_next_free_sgpr 7
		.amdhsa_named_barrier_count 0
		.amdhsa_reserve_vcc 1
		.amdhsa_float_round_mode_32 0
		.amdhsa_float_round_mode_16_64 0
		.amdhsa_float_denorm_mode_32 3
		.amdhsa_float_denorm_mode_16_64 3
		.amdhsa_fp16_overflow 0
		.amdhsa_memory_ordered 1
		.amdhsa_forward_progress 1
		.amdhsa_inst_pref_size 2
		.amdhsa_round_robin_scheduling 0
		.amdhsa_exception_fp_ieee_invalid_op 0
		.amdhsa_exception_fp_denorm_src 0
		.amdhsa_exception_fp_ieee_div_zero 0
		.amdhsa_exception_fp_ieee_overflow 0
		.amdhsa_exception_fp_ieee_underflow 0
		.amdhsa_exception_fp_ieee_inexact 0
		.amdhsa_exception_int_div_zero 0
	.end_amdhsa_kernel
	.section	.text._ZN8rajaperf9polybench13poly_gemver_3ILm256EEEvPdS2_l,"axG",@progbits,_ZN8rajaperf9polybench13poly_gemver_3ILm256EEEvPdS2_l,comdat
.Lfunc_end2:
	.size	_ZN8rajaperf9polybench13poly_gemver_3ILm256EEEvPdS2_l, .Lfunc_end2-_ZN8rajaperf9polybench13poly_gemver_3ILm256EEEvPdS2_l
                                        ; -- End function
	.set _ZN8rajaperf9polybench13poly_gemver_3ILm256EEEvPdS2_l.num_vgpr, 8
	.set _ZN8rajaperf9polybench13poly_gemver_3ILm256EEEvPdS2_l.num_agpr, 0
	.set _ZN8rajaperf9polybench13poly_gemver_3ILm256EEEvPdS2_l.numbered_sgpr, 7
	.set _ZN8rajaperf9polybench13poly_gemver_3ILm256EEEvPdS2_l.num_named_barrier, 0
	.set _ZN8rajaperf9polybench13poly_gemver_3ILm256EEEvPdS2_l.private_seg_size, 0
	.set _ZN8rajaperf9polybench13poly_gemver_3ILm256EEEvPdS2_l.uses_vcc, 1
	.set _ZN8rajaperf9polybench13poly_gemver_3ILm256EEEvPdS2_l.uses_flat_scratch, 0
	.set _ZN8rajaperf9polybench13poly_gemver_3ILm256EEEvPdS2_l.has_dyn_sized_stack, 0
	.set _ZN8rajaperf9polybench13poly_gemver_3ILm256EEEvPdS2_l.has_recursion, 0
	.set _ZN8rajaperf9polybench13poly_gemver_3ILm256EEEvPdS2_l.has_indirect_call, 0
	.section	.AMDGPU.csdata,"",@progbits
; Kernel info:
; codeLenInByte = 164
; TotalNumSgprs: 9
; NumVgprs: 8
; ScratchSize: 0
; MemoryBound: 0
; FloatMode: 240
; IeeeMode: 1
; LDSByteSize: 0 bytes/workgroup (compile time only)
; SGPRBlocks: 0
; VGPRBlocks: 0
; NumSGPRsForWavesPerEU: 9
; NumVGPRsForWavesPerEU: 8
; NamedBarCnt: 0
; Occupancy: 16
; WaveLimiterHint : 0
; COMPUTE_PGM_RSRC2:SCRATCH_EN: 0
; COMPUTE_PGM_RSRC2:USER_SGPR: 2
; COMPUTE_PGM_RSRC2:TRAP_HANDLER: 0
; COMPUTE_PGM_RSRC2:TGID_X_EN: 1
; COMPUTE_PGM_RSRC2:TGID_Y_EN: 0
; COMPUTE_PGM_RSRC2:TGID_Z_EN: 0
; COMPUTE_PGM_RSRC2:TIDIG_COMP_CNT: 0
	.section	.text._ZN8rajaperf9polybench13poly_gemver_4ILm256EEEvPdS2_S2_dl,"axG",@progbits,_ZN8rajaperf9polybench13poly_gemver_4ILm256EEEvPdS2_S2_dl,comdat
	.protected	_ZN8rajaperf9polybench13poly_gemver_4ILm256EEEvPdS2_S2_dl ; -- Begin function _ZN8rajaperf9polybench13poly_gemver_4ILm256EEEvPdS2_S2_dl
	.globl	_ZN8rajaperf9polybench13poly_gemver_4ILm256EEEvPdS2_S2_dl
	.p2align	8
	.type	_ZN8rajaperf9polybench13poly_gemver_4ILm256EEEvPdS2_S2_dl,@function
_ZN8rajaperf9polybench13poly_gemver_4ILm256EEEvPdS2_S2_dl: ; @_ZN8rajaperf9polybench13poly_gemver_4ILm256EEEvPdS2_S2_dl
; %bb.0:
	s_load_b64 s[2:3], s[0:1], 0x20
	s_bfe_u32 s4, ttmp6, 0x4000c
	s_and_b32 s5, ttmp6, 15
	s_add_co_i32 s4, s4, 1
	s_getreg_b32 s6, hwreg(HW_REG_IB_STS2, 6, 4)
	s_mul_i32 s4, ttmp9, s4
	s_delay_alu instid0(SALU_CYCLE_1) | instskip(SKIP_3) | instid1(SALU_CYCLE_1)
	s_add_co_i32 s4, s5, s4
	s_cmp_eq_u32 s6, 0
	s_mov_b32 s5, 0
	s_cselect_b32 s4, ttmp9, s4
	s_lshl_b64 s[4:5], s[4:5], 8
	s_delay_alu instid0(SALU_CYCLE_1) | instskip(SKIP_2) | instid1(VALU_DEP_1)
	v_dual_mov_b32 v5, s5 :: v_dual_bitop2_b32 v4, s4, v0 bitop3:0x54
	s_mov_b32 s4, exec_lo
	s_wait_kmcnt 0x0
	v_cmpx_gt_i64_e64 s[2:3], v[4:5]
	s_cbranch_execz .LBB3_4
; %bb.1:
	s_load_b256 s[4:11], s[0:1], 0x0
	s_wait_kmcnt 0x0
	v_lshl_add_u64 v[0:1], v[4:5], 3, s[8:9]
	v_mul_u64_e32 v[4:5], s[2:3], v[4:5]
	global_load_b64 v[2:3], v[0:1], off
	v_lshl_add_u64 v[4:5], v[4:5], 3, s[4:5]
.LBB3_2:                                ; =>This Inner Loop Header: Depth=1
	global_load_b64 v[6:7], v[4:5], off
	s_load_b64 s[0:1], s[6:7], 0x0
	v_add_nc_u64_e32 v[4:5], 8, v[4:5]
	s_add_nc_u64 s[2:3], s[2:3], -1
	s_wait_xcnt 0x0
	s_add_nc_u64 s[6:7], s[6:7], 8
	s_cmp_eq_u64 s[2:3], 0
	s_wait_loadcnt 0x0
	v_mul_f64_e32 v[6:7], s[10:11], v[6:7]
	s_wait_kmcnt 0x0
	s_delay_alu instid0(VALU_DEP_1)
	v_fmac_f64_e32 v[2:3], s[0:1], v[6:7]
	s_cbranch_scc0 .LBB3_2
; %bb.3:
	global_store_b64 v[0:1], v[2:3], off
.LBB3_4:
	s_endpgm
	.section	.rodata,"a",@progbits
	.p2align	6, 0x0
	.amdhsa_kernel _ZN8rajaperf9polybench13poly_gemver_4ILm256EEEvPdS2_S2_dl
		.amdhsa_group_segment_fixed_size 0
		.amdhsa_private_segment_fixed_size 0
		.amdhsa_kernarg_size 40
		.amdhsa_user_sgpr_count 2
		.amdhsa_user_sgpr_dispatch_ptr 0
		.amdhsa_user_sgpr_queue_ptr 0
		.amdhsa_user_sgpr_kernarg_segment_ptr 1
		.amdhsa_user_sgpr_dispatch_id 0
		.amdhsa_user_sgpr_kernarg_preload_length 0
		.amdhsa_user_sgpr_kernarg_preload_offset 0
		.amdhsa_user_sgpr_private_segment_size 0
		.amdhsa_wavefront_size32 1
		.amdhsa_uses_dynamic_stack 0
		.amdhsa_enable_private_segment 0
		.amdhsa_system_sgpr_workgroup_id_x 1
		.amdhsa_system_sgpr_workgroup_id_y 0
		.amdhsa_system_sgpr_workgroup_id_z 0
		.amdhsa_system_sgpr_workgroup_info 0
		.amdhsa_system_vgpr_workitem_id 0
		.amdhsa_next_free_vgpr 8
		.amdhsa_next_free_sgpr 12
		.amdhsa_named_barrier_count 0
		.amdhsa_reserve_vcc 0
		.amdhsa_float_round_mode_32 0
		.amdhsa_float_round_mode_16_64 0
		.amdhsa_float_denorm_mode_32 3
		.amdhsa_float_denorm_mode_16_64 3
		.amdhsa_fp16_overflow 0
		.amdhsa_memory_ordered 1
		.amdhsa_forward_progress 1
		.amdhsa_inst_pref_size 2
		.amdhsa_round_robin_scheduling 0
		.amdhsa_exception_fp_ieee_invalid_op 0
		.amdhsa_exception_fp_denorm_src 0
		.amdhsa_exception_fp_ieee_div_zero 0
		.amdhsa_exception_fp_ieee_overflow 0
		.amdhsa_exception_fp_ieee_underflow 0
		.amdhsa_exception_fp_ieee_inexact 0
		.amdhsa_exception_int_div_zero 0
	.end_amdhsa_kernel
	.section	.text._ZN8rajaperf9polybench13poly_gemver_4ILm256EEEvPdS2_S2_dl,"axG",@progbits,_ZN8rajaperf9polybench13poly_gemver_4ILm256EEEvPdS2_S2_dl,comdat
.Lfunc_end3:
	.size	_ZN8rajaperf9polybench13poly_gemver_4ILm256EEEvPdS2_S2_dl, .Lfunc_end3-_ZN8rajaperf9polybench13poly_gemver_4ILm256EEEvPdS2_S2_dl
                                        ; -- End function
	.set _ZN8rajaperf9polybench13poly_gemver_4ILm256EEEvPdS2_S2_dl.num_vgpr, 8
	.set _ZN8rajaperf9polybench13poly_gemver_4ILm256EEEvPdS2_S2_dl.num_agpr, 0
	.set _ZN8rajaperf9polybench13poly_gemver_4ILm256EEEvPdS2_S2_dl.numbered_sgpr, 12
	.set _ZN8rajaperf9polybench13poly_gemver_4ILm256EEEvPdS2_S2_dl.num_named_barrier, 0
	.set _ZN8rajaperf9polybench13poly_gemver_4ILm256EEEvPdS2_S2_dl.private_seg_size, 0
	.set _ZN8rajaperf9polybench13poly_gemver_4ILm256EEEvPdS2_S2_dl.uses_vcc, 0
	.set _ZN8rajaperf9polybench13poly_gemver_4ILm256EEEvPdS2_S2_dl.uses_flat_scratch, 0
	.set _ZN8rajaperf9polybench13poly_gemver_4ILm256EEEvPdS2_S2_dl.has_dyn_sized_stack, 0
	.set _ZN8rajaperf9polybench13poly_gemver_4ILm256EEEvPdS2_S2_dl.has_recursion, 0
	.set _ZN8rajaperf9polybench13poly_gemver_4ILm256EEEvPdS2_S2_dl.has_indirect_call, 0
	.section	.AMDGPU.csdata,"",@progbits
; Kernel info:
; codeLenInByte = 216
; TotalNumSgprs: 12
; NumVgprs: 8
; ScratchSize: 0
; MemoryBound: 0
; FloatMode: 240
; IeeeMode: 1
; LDSByteSize: 0 bytes/workgroup (compile time only)
; SGPRBlocks: 0
; VGPRBlocks: 0
; NumSGPRsForWavesPerEU: 12
; NumVGPRsForWavesPerEU: 8
; NamedBarCnt: 0
; Occupancy: 16
; WaveLimiterHint : 0
; COMPUTE_PGM_RSRC2:SCRATCH_EN: 0
; COMPUTE_PGM_RSRC2:USER_SGPR: 2
; COMPUTE_PGM_RSRC2:TRAP_HANDLER: 0
; COMPUTE_PGM_RSRC2:TGID_X_EN: 1
; COMPUTE_PGM_RSRC2:TGID_Y_EN: 0
; COMPUTE_PGM_RSRC2:TGID_Z_EN: 0
; COMPUTE_PGM_RSRC2:TIDIG_COMP_CNT: 0
	.section	.text._ZN8rajaperf9polybench17poly_gemver_1_lamILm32ELm8EZNS0_16POLYBENCH_GEMVER17runHipVariantImplILm256EEEvNS_9VariantIDEEUlllE_EEvlT1_,"axG",@progbits,_ZN8rajaperf9polybench17poly_gemver_1_lamILm32ELm8EZNS0_16POLYBENCH_GEMVER17runHipVariantImplILm256EEEvNS_9VariantIDEEUlllE_EEvlT1_,comdat
	.protected	_ZN8rajaperf9polybench17poly_gemver_1_lamILm32ELm8EZNS0_16POLYBENCH_GEMVER17runHipVariantImplILm256EEEvNS_9VariantIDEEUlllE_EEvlT1_ ; -- Begin function _ZN8rajaperf9polybench17poly_gemver_1_lamILm32ELm8EZNS0_16POLYBENCH_GEMVER17runHipVariantImplILm256EEEvNS_9VariantIDEEUlllE_EEvlT1_
	.globl	_ZN8rajaperf9polybench17poly_gemver_1_lamILm32ELm8EZNS0_16POLYBENCH_GEMVER17runHipVariantImplILm256EEEvNS_9VariantIDEEUlllE_EEvlT1_
	.p2align	8
	.type	_ZN8rajaperf9polybench17poly_gemver_1_lamILm32ELm8EZNS0_16POLYBENCH_GEMVER17runHipVariantImplILm256EEEvNS_9VariantIDEEUlllE_EEvlT1_,@function
_ZN8rajaperf9polybench17poly_gemver_1_lamILm32ELm8EZNS0_16POLYBENCH_GEMVER17runHipVariantImplILm256EEEvNS_9VariantIDEEUlllE_EEvlT1_: ; @_ZN8rajaperf9polybench17poly_gemver_1_lamILm32ELm8EZNS0_16POLYBENCH_GEMVER17runHipVariantImplILm256EEEvNS_9VariantIDEEUlllE_EEvlT1_
; %bb.0:
	s_bfe_u32 s3, ttmp6, 0x4000c
	s_bfe_u32 s4, ttmp6, 0x40010
	s_add_co_i32 s3, s3, 1
	s_add_co_i32 s4, s4, 1
	s_and_b32 s2, ttmp6, 15
	s_mul_i32 s3, ttmp9, s3
	s_mul_i32 s4, ttmp7, s4
	s_bfe_u32 s5, ttmp6, 0x40004
	s_add_co_i32 s6, s2, s3
	s_getreg_b32 s2, hwreg(HW_REG_IB_STS2, 6, 4)
	s_add_co_i32 s5, s5, s4
	v_bfe_u32 v4, v0, 10, 10
	v_mov_b32_e32 v5, 0
	s_cmp_eq_u32 s2, 0
	s_mov_b32 s3, 0
	s_cselect_b32 s2, ttmp7, s5
	s_delay_alu instid0(VALU_DEP_1) | instid1(SALU_CYCLE_1)
	v_lshl_add_u64 v[2:3], s[2:3], 3, v[4:5]
	v_and_b32_e32 v4, 0x3ff, v0
	s_cselect_b32 s2, ttmp9, s6
	s_delay_alu instid0(SALU_CYCLE_1)
	s_lshl_b64 s[2:3], s[2:3], 5
	s_delay_alu instid0(VALU_DEP_1) | instid1(SALU_CYCLE_1)
	v_add_nc_u64_e32 v[0:1], s[2:3], v[4:5]
	s_load_b64 s[2:3], s[0:1], 0x0
	s_delay_alu instid0(VALU_DEP_1) | instskip(SKIP_1) | instid1(VALU_DEP_1)
	v_max_i64 v[4:5], v[2:3], v[0:1]
	s_wait_kmcnt 0x0
	v_cmp_gt_i64_e32 vcc_lo, s[2:3], v[4:5]
	s_and_saveexec_b32 s2, vcc_lo
	s_cbranch_execz .LBB4_2
; %bb.1:
	s_load_b128 s[4:7], s[0:1], 0x28
	v_lshlrev_b64_e32 v[4:5], 3, v[2:3]
	v_lshlrev_b64_e32 v[0:1], 3, v[0:1]
	s_wait_kmcnt 0x0
	s_delay_alu instid0(VALU_DEP_2) | instskip(NEXT) | instid1(VALU_DEP_2)
	v_add_nc_u64_e32 v[6:7], s[4:5], v[4:5]
	v_add_nc_u64_e32 v[8:9], s[6:7], v[0:1]
	s_load_b256 s[4:11], s[0:1], 0x8
	global_load_b64 v[10:11], v[6:7], off
	global_load_b64 v[12:13], v[8:9], off
	s_wait_kmcnt 0x0
	v_add_nc_u64_e32 v[4:5], s[8:9], v[4:5]
	s_wait_xcnt 0x1
	v_add_nc_u64_e32 v[6:7], s[10:11], v[0:1]
	v_mul_u64_e32 v[2:3], s[6:7], v[2:3]
	v_add_nc_u64_e32 v[0:1], s[4:5], v[0:1]
	global_load_b64 v[8:9], v[4:5], off
	global_load_b64 v[14:15], v[6:7], off
	v_lshl_add_u64 v[0:1], v[2:3], 3, v[0:1]
	global_load_b64 v[2:3], v[0:1], off
	s_wait_loadcnt 0x3
	s_wait_xcnt 0x2
	v_mul_f64_e32 v[4:5], v[10:11], v[12:13]
	s_wait_loadcnt 0x1
	s_delay_alu instid0(VALU_DEP_1) | instskip(SKIP_1) | instid1(VALU_DEP_1)
	v_fmac_f64_e32 v[4:5], v[8:9], v[14:15]
	s_wait_loadcnt 0x0
	v_add_f64_e32 v[2:3], v[2:3], v[4:5]
	global_store_b64 v[0:1], v[2:3], off
.LBB4_2:
	s_endpgm
	.section	.rodata,"a",@progbits
	.p2align	6, 0x0
	.amdhsa_kernel _ZN8rajaperf9polybench17poly_gemver_1_lamILm32ELm8EZNS0_16POLYBENCH_GEMVER17runHipVariantImplILm256EEEvNS_9VariantIDEEUlllE_EEvlT1_
		.amdhsa_group_segment_fixed_size 0
		.amdhsa_private_segment_fixed_size 0
		.amdhsa_kernarg_size 56
		.amdhsa_user_sgpr_count 2
		.amdhsa_user_sgpr_dispatch_ptr 0
		.amdhsa_user_sgpr_queue_ptr 0
		.amdhsa_user_sgpr_kernarg_segment_ptr 1
		.amdhsa_user_sgpr_dispatch_id 0
		.amdhsa_user_sgpr_kernarg_preload_length 0
		.amdhsa_user_sgpr_kernarg_preload_offset 0
		.amdhsa_user_sgpr_private_segment_size 0
		.amdhsa_wavefront_size32 1
		.amdhsa_uses_dynamic_stack 0
		.amdhsa_enable_private_segment 0
		.amdhsa_system_sgpr_workgroup_id_x 1
		.amdhsa_system_sgpr_workgroup_id_y 1
		.amdhsa_system_sgpr_workgroup_id_z 0
		.amdhsa_system_sgpr_workgroup_info 0
		.amdhsa_system_vgpr_workitem_id 1
		.amdhsa_next_free_vgpr 16
		.amdhsa_next_free_sgpr 12
		.amdhsa_named_barrier_count 0
		.amdhsa_reserve_vcc 1
		.amdhsa_float_round_mode_32 0
		.amdhsa_float_round_mode_16_64 0
		.amdhsa_float_denorm_mode_32 3
		.amdhsa_float_denorm_mode_16_64 3
		.amdhsa_fp16_overflow 0
		.amdhsa_memory_ordered 1
		.amdhsa_forward_progress 1
		.amdhsa_inst_pref_size 3
		.amdhsa_round_robin_scheduling 0
		.amdhsa_exception_fp_ieee_invalid_op 0
		.amdhsa_exception_fp_denorm_src 0
		.amdhsa_exception_fp_ieee_div_zero 0
		.amdhsa_exception_fp_ieee_overflow 0
		.amdhsa_exception_fp_ieee_underflow 0
		.amdhsa_exception_fp_ieee_inexact 0
		.amdhsa_exception_int_div_zero 0
	.end_amdhsa_kernel
	.section	.text._ZN8rajaperf9polybench17poly_gemver_1_lamILm32ELm8EZNS0_16POLYBENCH_GEMVER17runHipVariantImplILm256EEEvNS_9VariantIDEEUlllE_EEvlT1_,"axG",@progbits,_ZN8rajaperf9polybench17poly_gemver_1_lamILm32ELm8EZNS0_16POLYBENCH_GEMVER17runHipVariantImplILm256EEEvNS_9VariantIDEEUlllE_EEvlT1_,comdat
.Lfunc_end4:
	.size	_ZN8rajaperf9polybench17poly_gemver_1_lamILm32ELm8EZNS0_16POLYBENCH_GEMVER17runHipVariantImplILm256EEEvNS_9VariantIDEEUlllE_EEvlT1_, .Lfunc_end4-_ZN8rajaperf9polybench17poly_gemver_1_lamILm32ELm8EZNS0_16POLYBENCH_GEMVER17runHipVariantImplILm256EEEvNS_9VariantIDEEUlllE_EEvlT1_
                                        ; -- End function
	.set _ZN8rajaperf9polybench17poly_gemver_1_lamILm32ELm8EZNS0_16POLYBENCH_GEMVER17runHipVariantImplILm256EEEvNS_9VariantIDEEUlllE_EEvlT1_.num_vgpr, 16
	.set _ZN8rajaperf9polybench17poly_gemver_1_lamILm32ELm8EZNS0_16POLYBENCH_GEMVER17runHipVariantImplILm256EEEvNS_9VariantIDEEUlllE_EEvlT1_.num_agpr, 0
	.set _ZN8rajaperf9polybench17poly_gemver_1_lamILm32ELm8EZNS0_16POLYBENCH_GEMVER17runHipVariantImplILm256EEEvNS_9VariantIDEEUlllE_EEvlT1_.numbered_sgpr, 12
	.set _ZN8rajaperf9polybench17poly_gemver_1_lamILm32ELm8EZNS0_16POLYBENCH_GEMVER17runHipVariantImplILm256EEEvNS_9VariantIDEEUlllE_EEvlT1_.num_named_barrier, 0
	.set _ZN8rajaperf9polybench17poly_gemver_1_lamILm32ELm8EZNS0_16POLYBENCH_GEMVER17runHipVariantImplILm256EEEvNS_9VariantIDEEUlllE_EEvlT1_.private_seg_size, 0
	.set _ZN8rajaperf9polybench17poly_gemver_1_lamILm32ELm8EZNS0_16POLYBENCH_GEMVER17runHipVariantImplILm256EEEvNS_9VariantIDEEUlllE_EEvlT1_.uses_vcc, 1
	.set _ZN8rajaperf9polybench17poly_gemver_1_lamILm32ELm8EZNS0_16POLYBENCH_GEMVER17runHipVariantImplILm256EEEvNS_9VariantIDEEUlllE_EEvlT1_.uses_flat_scratch, 0
	.set _ZN8rajaperf9polybench17poly_gemver_1_lamILm32ELm8EZNS0_16POLYBENCH_GEMVER17runHipVariantImplILm256EEEvNS_9VariantIDEEUlllE_EEvlT1_.has_dyn_sized_stack, 0
	.set _ZN8rajaperf9polybench17poly_gemver_1_lamILm32ELm8EZNS0_16POLYBENCH_GEMVER17runHipVariantImplILm256EEEvNS_9VariantIDEEUlllE_EEvlT1_.has_recursion, 0
	.set _ZN8rajaperf9polybench17poly_gemver_1_lamILm32ELm8EZNS0_16POLYBENCH_GEMVER17runHipVariantImplILm256EEEvNS_9VariantIDEEUlllE_EEvlT1_.has_indirect_call, 0
	.section	.AMDGPU.csdata,"",@progbits
; Kernel info:
; codeLenInByte = 336
; TotalNumSgprs: 14
; NumVgprs: 16
; ScratchSize: 0
; MemoryBound: 0
; FloatMode: 240
; IeeeMode: 1
; LDSByteSize: 0 bytes/workgroup (compile time only)
; SGPRBlocks: 0
; VGPRBlocks: 0
; NumSGPRsForWavesPerEU: 14
; NumVGPRsForWavesPerEU: 16
; NamedBarCnt: 0
; Occupancy: 16
; WaveLimiterHint : 0
; COMPUTE_PGM_RSRC2:SCRATCH_EN: 0
; COMPUTE_PGM_RSRC2:USER_SGPR: 2
; COMPUTE_PGM_RSRC2:TRAP_HANDLER: 0
; COMPUTE_PGM_RSRC2:TGID_X_EN: 1
; COMPUTE_PGM_RSRC2:TGID_Y_EN: 1
; COMPUTE_PGM_RSRC2:TGID_Z_EN: 0
; COMPUTE_PGM_RSRC2:TIDIG_COMP_CNT: 1
	.section	.text._ZN8rajaperf9polybench19poly_gemver_234_lamILm256EZNS0_16POLYBENCH_GEMVER17runHipVariantImplILm256EEEvNS_9VariantIDEEUllE_EEvlT0_,"axG",@progbits,_ZN8rajaperf9polybench19poly_gemver_234_lamILm256EZNS0_16POLYBENCH_GEMVER17runHipVariantImplILm256EEEvNS_9VariantIDEEUllE_EEvlT0_,comdat
	.protected	_ZN8rajaperf9polybench19poly_gemver_234_lamILm256EZNS0_16POLYBENCH_GEMVER17runHipVariantImplILm256EEEvNS_9VariantIDEEUllE_EEvlT0_ ; -- Begin function _ZN8rajaperf9polybench19poly_gemver_234_lamILm256EZNS0_16POLYBENCH_GEMVER17runHipVariantImplILm256EEEvNS_9VariantIDEEUllE_EEvlT0_
	.globl	_ZN8rajaperf9polybench19poly_gemver_234_lamILm256EZNS0_16POLYBENCH_GEMVER17runHipVariantImplILm256EEEvNS_9VariantIDEEUllE_EEvlT0_
	.p2align	8
	.type	_ZN8rajaperf9polybench19poly_gemver_234_lamILm256EZNS0_16POLYBENCH_GEMVER17runHipVariantImplILm256EEEvNS_9VariantIDEEUllE_EEvlT0_,@function
_ZN8rajaperf9polybench19poly_gemver_234_lamILm256EZNS0_16POLYBENCH_GEMVER17runHipVariantImplILm256EEEvNS_9VariantIDEEUllE_EEvlT0_: ; @_ZN8rajaperf9polybench19poly_gemver_234_lamILm256EZNS0_16POLYBENCH_GEMVER17runHipVariantImplILm256EEEvNS_9VariantIDEEUllE_EEvlT0_
; %bb.0:
	s_load_b256 s[4:11], s[0:1], 0x0
	s_bfe_u32 s2, ttmp6, 0x4000c
	s_and_b32 s3, ttmp6, 15
	s_add_co_i32 s2, s2, 1
	s_getreg_b32 s12, hwreg(HW_REG_IB_STS2, 6, 4)
	s_mul_i32 s2, ttmp9, s2
	s_delay_alu instid0(SALU_CYCLE_1) | instskip(SKIP_3) | instid1(SALU_CYCLE_1)
	s_add_co_i32 s2, s3, s2
	s_cmp_eq_u32 s12, 0
	s_mov_b32 s3, 0
	s_cselect_b32 s2, ttmp9, s2
	s_lshl_b64 s[2:3], s[2:3], 8
	s_delay_alu instid0(SALU_CYCLE_1) | instskip(SKIP_2) | instid1(VALU_DEP_1)
	v_dual_mov_b32 v1, s3 :: v_dual_bitop2_b32 v0, s2, v0 bitop3:0x54
	s_mov_b32 s2, exec_lo
	s_wait_kmcnt 0x0
	v_cmpx_gt_i64_e64 s[4:5], v[0:1]
	s_cbranch_execz .LBB5_5
; %bb.1:
	s_load_b128 s[0:3], s[0:1], 0x20
	v_cmp_lt_i64_e64 s4, s[6:7], 1
	v_mov_b64_e32 v[2:3], 0
	s_and_b32 vcc_lo, exec_lo, s4
	s_cbranch_vccnz .LBB5_4
; %bb.2:
	v_lshl_add_u64 v[4:5], v[0:1], 3, s[10:11]
	s_lshl_b64 s[4:5], s[6:7], 3
.LBB5_3:                                ; =>This Inner Loop Header: Depth=1
	global_load_b64 v[6:7], v[4:5], off
	s_wait_kmcnt 0x0
	s_load_b64 s[10:11], s[0:1], 0x0
	v_add_nc_u64_e32 v[4:5], s[4:5], v[4:5]
	s_add_nc_u64 s[6:7], s[6:7], -1
	s_wait_xcnt 0x0
	s_add_nc_u64 s[0:1], s[0:1], 8
	s_cmp_lg_u64 s[6:7], 0
	s_wait_loadcnt 0x0
	v_mul_f64_e32 v[6:7], s[8:9], v[6:7]
	s_wait_kmcnt 0x0
	s_delay_alu instid0(VALU_DEP_1)
	v_fmac_f64_e32 v[2:3], s[10:11], v[6:7]
	s_cbranch_scc1 .LBB5_3
.LBB5_4:
	s_wait_kmcnt 0x0
	v_lshl_add_u64 v[0:1], v[0:1], 3, s[2:3]
	global_store_b64 v[0:1], v[2:3], off
.LBB5_5:
	s_endpgm
	.section	.rodata,"a",@progbits
	.p2align	6, 0x0
	.amdhsa_kernel _ZN8rajaperf9polybench19poly_gemver_234_lamILm256EZNS0_16POLYBENCH_GEMVER17runHipVariantImplILm256EEEvNS_9VariantIDEEUllE_EEvlT0_
		.amdhsa_group_segment_fixed_size 0
		.amdhsa_private_segment_fixed_size 0
		.amdhsa_kernarg_size 48
		.amdhsa_user_sgpr_count 2
		.amdhsa_user_sgpr_dispatch_ptr 0
		.amdhsa_user_sgpr_queue_ptr 0
		.amdhsa_user_sgpr_kernarg_segment_ptr 1
		.amdhsa_user_sgpr_dispatch_id 0
		.amdhsa_user_sgpr_kernarg_preload_length 0
		.amdhsa_user_sgpr_kernarg_preload_offset 0
		.amdhsa_user_sgpr_private_segment_size 0
		.amdhsa_wavefront_size32 1
		.amdhsa_uses_dynamic_stack 0
		.amdhsa_enable_private_segment 0
		.amdhsa_system_sgpr_workgroup_id_x 1
		.amdhsa_system_sgpr_workgroup_id_y 0
		.amdhsa_system_sgpr_workgroup_id_z 0
		.amdhsa_system_sgpr_workgroup_info 0
		.amdhsa_system_vgpr_workitem_id 0
		.amdhsa_next_free_vgpr 8
		.amdhsa_next_free_sgpr 13
		.amdhsa_named_barrier_count 0
		.amdhsa_reserve_vcc 1
		.amdhsa_float_round_mode_32 0
		.amdhsa_float_round_mode_16_64 0
		.amdhsa_float_denorm_mode_32 3
		.amdhsa_float_denorm_mode_16_64 3
		.amdhsa_fp16_overflow 0
		.amdhsa_memory_ordered 1
		.amdhsa_forward_progress 1
		.amdhsa_inst_pref_size 2
		.amdhsa_round_robin_scheduling 0
		.amdhsa_exception_fp_ieee_invalid_op 0
		.amdhsa_exception_fp_denorm_src 0
		.amdhsa_exception_fp_ieee_div_zero 0
		.amdhsa_exception_fp_ieee_overflow 0
		.amdhsa_exception_fp_ieee_underflow 0
		.amdhsa_exception_fp_ieee_inexact 0
		.amdhsa_exception_int_div_zero 0
	.end_amdhsa_kernel
	.section	.text._ZN8rajaperf9polybench19poly_gemver_234_lamILm256EZNS0_16POLYBENCH_GEMVER17runHipVariantImplILm256EEEvNS_9VariantIDEEUllE_EEvlT0_,"axG",@progbits,_ZN8rajaperf9polybench19poly_gemver_234_lamILm256EZNS0_16POLYBENCH_GEMVER17runHipVariantImplILm256EEEvNS_9VariantIDEEUllE_EEvlT0_,comdat
.Lfunc_end5:
	.size	_ZN8rajaperf9polybench19poly_gemver_234_lamILm256EZNS0_16POLYBENCH_GEMVER17runHipVariantImplILm256EEEvNS_9VariantIDEEUllE_EEvlT0_, .Lfunc_end5-_ZN8rajaperf9polybench19poly_gemver_234_lamILm256EZNS0_16POLYBENCH_GEMVER17runHipVariantImplILm256EEEvNS_9VariantIDEEUllE_EEvlT0_
                                        ; -- End function
	.set _ZN8rajaperf9polybench19poly_gemver_234_lamILm256EZNS0_16POLYBENCH_GEMVER17runHipVariantImplILm256EEEvNS_9VariantIDEEUllE_EEvlT0_.num_vgpr, 8
	.set _ZN8rajaperf9polybench19poly_gemver_234_lamILm256EZNS0_16POLYBENCH_GEMVER17runHipVariantImplILm256EEEvNS_9VariantIDEEUllE_EEvlT0_.num_agpr, 0
	.set _ZN8rajaperf9polybench19poly_gemver_234_lamILm256EZNS0_16POLYBENCH_GEMVER17runHipVariantImplILm256EEEvNS_9VariantIDEEUllE_EEvlT0_.numbered_sgpr, 13
	.set _ZN8rajaperf9polybench19poly_gemver_234_lamILm256EZNS0_16POLYBENCH_GEMVER17runHipVariantImplILm256EEEvNS_9VariantIDEEUllE_EEvlT0_.num_named_barrier, 0
	.set _ZN8rajaperf9polybench19poly_gemver_234_lamILm256EZNS0_16POLYBENCH_GEMVER17runHipVariantImplILm256EEEvNS_9VariantIDEEUllE_EEvlT0_.private_seg_size, 0
	.set _ZN8rajaperf9polybench19poly_gemver_234_lamILm256EZNS0_16POLYBENCH_GEMVER17runHipVariantImplILm256EEEvNS_9VariantIDEEUllE_EEvlT0_.uses_vcc, 1
	.set _ZN8rajaperf9polybench19poly_gemver_234_lamILm256EZNS0_16POLYBENCH_GEMVER17runHipVariantImplILm256EEEvNS_9VariantIDEEUllE_EEvlT0_.uses_flat_scratch, 0
	.set _ZN8rajaperf9polybench19poly_gemver_234_lamILm256EZNS0_16POLYBENCH_GEMVER17runHipVariantImplILm256EEEvNS_9VariantIDEEUllE_EEvlT0_.has_dyn_sized_stack, 0
	.set _ZN8rajaperf9polybench19poly_gemver_234_lamILm256EZNS0_16POLYBENCH_GEMVER17runHipVariantImplILm256EEEvNS_9VariantIDEEUllE_EEvlT0_.has_recursion, 0
	.set _ZN8rajaperf9polybench19poly_gemver_234_lamILm256EZNS0_16POLYBENCH_GEMVER17runHipVariantImplILm256EEEvNS_9VariantIDEEUllE_EEvlT0_.has_indirect_call, 0
	.section	.AMDGPU.csdata,"",@progbits
; Kernel info:
; codeLenInByte = 228
; TotalNumSgprs: 15
; NumVgprs: 8
; ScratchSize: 0
; MemoryBound: 0
; FloatMode: 240
; IeeeMode: 1
; LDSByteSize: 0 bytes/workgroup (compile time only)
; SGPRBlocks: 0
; VGPRBlocks: 0
; NumSGPRsForWavesPerEU: 15
; NumVGPRsForWavesPerEU: 8
; NamedBarCnt: 0
; Occupancy: 16
; WaveLimiterHint : 0
; COMPUTE_PGM_RSRC2:SCRATCH_EN: 0
; COMPUTE_PGM_RSRC2:USER_SGPR: 2
; COMPUTE_PGM_RSRC2:TRAP_HANDLER: 0
; COMPUTE_PGM_RSRC2:TGID_X_EN: 1
; COMPUTE_PGM_RSRC2:TGID_Y_EN: 0
; COMPUTE_PGM_RSRC2:TGID_Z_EN: 0
; COMPUTE_PGM_RSRC2:TIDIG_COMP_CNT: 0
	.section	.text._ZN8rajaperf9polybench19poly_gemver_234_lamILm256EZNS0_16POLYBENCH_GEMVER17runHipVariantImplILm256EEEvNS_9VariantIDEEUllE0_EEvlT0_,"axG",@progbits,_ZN8rajaperf9polybench19poly_gemver_234_lamILm256EZNS0_16POLYBENCH_GEMVER17runHipVariantImplILm256EEEvNS_9VariantIDEEUllE0_EEvlT0_,comdat
	.protected	_ZN8rajaperf9polybench19poly_gemver_234_lamILm256EZNS0_16POLYBENCH_GEMVER17runHipVariantImplILm256EEEvNS_9VariantIDEEUllE0_EEvlT0_ ; -- Begin function _ZN8rajaperf9polybench19poly_gemver_234_lamILm256EZNS0_16POLYBENCH_GEMVER17runHipVariantImplILm256EEEvNS_9VariantIDEEUllE0_EEvlT0_
	.globl	_ZN8rajaperf9polybench19poly_gemver_234_lamILm256EZNS0_16POLYBENCH_GEMVER17runHipVariantImplILm256EEEvNS_9VariantIDEEUllE0_EEvlT0_
	.p2align	8
	.type	_ZN8rajaperf9polybench19poly_gemver_234_lamILm256EZNS0_16POLYBENCH_GEMVER17runHipVariantImplILm256EEEvNS_9VariantIDEEUllE0_EEvlT0_,@function
_ZN8rajaperf9polybench19poly_gemver_234_lamILm256EZNS0_16POLYBENCH_GEMVER17runHipVariantImplILm256EEEvNS_9VariantIDEEUllE0_EEvlT0_: ; @_ZN8rajaperf9polybench19poly_gemver_234_lamILm256EZNS0_16POLYBENCH_GEMVER17runHipVariantImplILm256EEEvNS_9VariantIDEEUllE0_EEvlT0_
; %bb.0:
	s_load_b64 s[2:3], s[0:1], 0x0
	s_bfe_u32 s4, ttmp6, 0x4000c
	s_and_b32 s5, ttmp6, 15
	s_add_co_i32 s4, s4, 1
	s_getreg_b32 s6, hwreg(HW_REG_IB_STS2, 6, 4)
	s_mul_i32 s4, ttmp9, s4
	s_delay_alu instid0(SALU_CYCLE_1) | instskip(SKIP_3) | instid1(SALU_CYCLE_1)
	s_add_co_i32 s4, s5, s4
	s_cmp_eq_u32 s6, 0
	s_mov_b32 s5, 0
	s_cselect_b32 s4, ttmp9, s4
	s_lshl_b64 s[4:5], s[4:5], 8
	s_delay_alu instid0(SALU_CYCLE_1) | instskip(SKIP_1) | instid1(VALU_DEP_1)
	v_dual_mov_b32 v1, s5 :: v_dual_bitop2_b32 v0, s4, v0 bitop3:0x54
	s_wait_kmcnt 0x0
	v_cmp_gt_i64_e32 vcc_lo, s[2:3], v[0:1]
	s_and_saveexec_b32 s2, vcc_lo
	s_cbranch_execz .LBB6_2
; %bb.1:
	s_load_b128 s[4:7], s[0:1], 0x8
	v_lshlrev_b64_e32 v[0:1], 3, v[0:1]
	s_wait_kmcnt 0x0
	s_delay_alu instid0(VALU_DEP_1)
	v_add_nc_u64_e32 v[2:3], s[6:7], v[0:1]
	v_add_nc_u64_e32 v[0:1], s[4:5], v[0:1]
	global_load_b64 v[4:5], v[2:3], off
	global_load_b64 v[6:7], v[0:1], off
	s_wait_loadcnt 0x0
	v_add_f64_e32 v[2:3], v[4:5], v[6:7]
	global_store_b64 v[0:1], v[2:3], off
.LBB6_2:
	s_endpgm
	.section	.rodata,"a",@progbits
	.p2align	6, 0x0
	.amdhsa_kernel _ZN8rajaperf9polybench19poly_gemver_234_lamILm256EZNS0_16POLYBENCH_GEMVER17runHipVariantImplILm256EEEvNS_9VariantIDEEUllE0_EEvlT0_
		.amdhsa_group_segment_fixed_size 0
		.amdhsa_private_segment_fixed_size 0
		.amdhsa_kernarg_size 24
		.amdhsa_user_sgpr_count 2
		.amdhsa_user_sgpr_dispatch_ptr 0
		.amdhsa_user_sgpr_queue_ptr 0
		.amdhsa_user_sgpr_kernarg_segment_ptr 1
		.amdhsa_user_sgpr_dispatch_id 0
		.amdhsa_user_sgpr_kernarg_preload_length 0
		.amdhsa_user_sgpr_kernarg_preload_offset 0
		.amdhsa_user_sgpr_private_segment_size 0
		.amdhsa_wavefront_size32 1
		.amdhsa_uses_dynamic_stack 0
		.amdhsa_enable_private_segment 0
		.amdhsa_system_sgpr_workgroup_id_x 1
		.amdhsa_system_sgpr_workgroup_id_y 0
		.amdhsa_system_sgpr_workgroup_id_z 0
		.amdhsa_system_sgpr_workgroup_info 0
		.amdhsa_system_vgpr_workitem_id 0
		.amdhsa_next_free_vgpr 8
		.amdhsa_next_free_sgpr 8
		.amdhsa_named_barrier_count 0
		.amdhsa_reserve_vcc 1
		.amdhsa_float_round_mode_32 0
		.amdhsa_float_round_mode_16_64 0
		.amdhsa_float_denorm_mode_32 3
		.amdhsa_float_denorm_mode_16_64 3
		.amdhsa_fp16_overflow 0
		.amdhsa_memory_ordered 1
		.amdhsa_forward_progress 1
		.amdhsa_inst_pref_size 2
		.amdhsa_round_robin_scheduling 0
		.amdhsa_exception_fp_ieee_invalid_op 0
		.amdhsa_exception_fp_denorm_src 0
		.amdhsa_exception_fp_ieee_div_zero 0
		.amdhsa_exception_fp_ieee_overflow 0
		.amdhsa_exception_fp_ieee_underflow 0
		.amdhsa_exception_fp_ieee_inexact 0
		.amdhsa_exception_int_div_zero 0
	.end_amdhsa_kernel
	.section	.text._ZN8rajaperf9polybench19poly_gemver_234_lamILm256EZNS0_16POLYBENCH_GEMVER17runHipVariantImplILm256EEEvNS_9VariantIDEEUllE0_EEvlT0_,"axG",@progbits,_ZN8rajaperf9polybench19poly_gemver_234_lamILm256EZNS0_16POLYBENCH_GEMVER17runHipVariantImplILm256EEEvNS_9VariantIDEEUllE0_EEvlT0_,comdat
.Lfunc_end6:
	.size	_ZN8rajaperf9polybench19poly_gemver_234_lamILm256EZNS0_16POLYBENCH_GEMVER17runHipVariantImplILm256EEEvNS_9VariantIDEEUllE0_EEvlT0_, .Lfunc_end6-_ZN8rajaperf9polybench19poly_gemver_234_lamILm256EZNS0_16POLYBENCH_GEMVER17runHipVariantImplILm256EEEvNS_9VariantIDEEUllE0_EEvlT0_
                                        ; -- End function
	.set _ZN8rajaperf9polybench19poly_gemver_234_lamILm256EZNS0_16POLYBENCH_GEMVER17runHipVariantImplILm256EEEvNS_9VariantIDEEUllE0_EEvlT0_.num_vgpr, 8
	.set _ZN8rajaperf9polybench19poly_gemver_234_lamILm256EZNS0_16POLYBENCH_GEMVER17runHipVariantImplILm256EEEvNS_9VariantIDEEUllE0_EEvlT0_.num_agpr, 0
	.set _ZN8rajaperf9polybench19poly_gemver_234_lamILm256EZNS0_16POLYBENCH_GEMVER17runHipVariantImplILm256EEEvNS_9VariantIDEEUllE0_EEvlT0_.numbered_sgpr, 8
	.set _ZN8rajaperf9polybench19poly_gemver_234_lamILm256EZNS0_16POLYBENCH_GEMVER17runHipVariantImplILm256EEEvNS_9VariantIDEEUllE0_EEvlT0_.num_named_barrier, 0
	.set _ZN8rajaperf9polybench19poly_gemver_234_lamILm256EZNS0_16POLYBENCH_GEMVER17runHipVariantImplILm256EEEvNS_9VariantIDEEUllE0_EEvlT0_.private_seg_size, 0
	.set _ZN8rajaperf9polybench19poly_gemver_234_lamILm256EZNS0_16POLYBENCH_GEMVER17runHipVariantImplILm256EEEvNS_9VariantIDEEUllE0_EEvlT0_.uses_vcc, 1
	.set _ZN8rajaperf9polybench19poly_gemver_234_lamILm256EZNS0_16POLYBENCH_GEMVER17runHipVariantImplILm256EEEvNS_9VariantIDEEUllE0_EEvlT0_.uses_flat_scratch, 0
	.set _ZN8rajaperf9polybench19poly_gemver_234_lamILm256EZNS0_16POLYBENCH_GEMVER17runHipVariantImplILm256EEEvNS_9VariantIDEEUllE0_EEvlT0_.has_dyn_sized_stack, 0
	.set _ZN8rajaperf9polybench19poly_gemver_234_lamILm256EZNS0_16POLYBENCH_GEMVER17runHipVariantImplILm256EEEvNS_9VariantIDEEUllE0_EEvlT0_.has_recursion, 0
	.set _ZN8rajaperf9polybench19poly_gemver_234_lamILm256EZNS0_16POLYBENCH_GEMVER17runHipVariantImplILm256EEEvNS_9VariantIDEEUllE0_EEvlT0_.has_indirect_call, 0
	.section	.AMDGPU.csdata,"",@progbits
; Kernel info:
; codeLenInByte = 164
; TotalNumSgprs: 10
; NumVgprs: 8
; ScratchSize: 0
; MemoryBound: 0
; FloatMode: 240
; IeeeMode: 1
; LDSByteSize: 0 bytes/workgroup (compile time only)
; SGPRBlocks: 0
; VGPRBlocks: 0
; NumSGPRsForWavesPerEU: 10
; NumVGPRsForWavesPerEU: 8
; NamedBarCnt: 0
; Occupancy: 16
; WaveLimiterHint : 0
; COMPUTE_PGM_RSRC2:SCRATCH_EN: 0
; COMPUTE_PGM_RSRC2:USER_SGPR: 2
; COMPUTE_PGM_RSRC2:TRAP_HANDLER: 0
; COMPUTE_PGM_RSRC2:TGID_X_EN: 1
; COMPUTE_PGM_RSRC2:TGID_Y_EN: 0
; COMPUTE_PGM_RSRC2:TGID_Z_EN: 0
; COMPUTE_PGM_RSRC2:TIDIG_COMP_CNT: 0
	.section	.text._ZN8rajaperf9polybench19poly_gemver_234_lamILm256EZNS0_16POLYBENCH_GEMVER17runHipVariantImplILm256EEEvNS_9VariantIDEEUllE1_EEvlT0_,"axG",@progbits,_ZN8rajaperf9polybench19poly_gemver_234_lamILm256EZNS0_16POLYBENCH_GEMVER17runHipVariantImplILm256EEEvNS_9VariantIDEEUllE1_EEvlT0_,comdat
	.protected	_ZN8rajaperf9polybench19poly_gemver_234_lamILm256EZNS0_16POLYBENCH_GEMVER17runHipVariantImplILm256EEEvNS_9VariantIDEEUllE1_EEvlT0_ ; -- Begin function _ZN8rajaperf9polybench19poly_gemver_234_lamILm256EZNS0_16POLYBENCH_GEMVER17runHipVariantImplILm256EEEvNS_9VariantIDEEUllE1_EEvlT0_
	.globl	_ZN8rajaperf9polybench19poly_gemver_234_lamILm256EZNS0_16POLYBENCH_GEMVER17runHipVariantImplILm256EEEvNS_9VariantIDEEUllE1_EEvlT0_
	.p2align	8
	.type	_ZN8rajaperf9polybench19poly_gemver_234_lamILm256EZNS0_16POLYBENCH_GEMVER17runHipVariantImplILm256EEEvNS_9VariantIDEEUllE1_EEvlT0_,@function
_ZN8rajaperf9polybench19poly_gemver_234_lamILm256EZNS0_16POLYBENCH_GEMVER17runHipVariantImplILm256EEEvNS_9VariantIDEEUllE1_EEvlT0_: ; @_ZN8rajaperf9polybench19poly_gemver_234_lamILm256EZNS0_16POLYBENCH_GEMVER17runHipVariantImplILm256EEEvNS_9VariantIDEEUllE1_EEvlT0_
; %bb.0:
	s_load_b64 s[2:3], s[0:1], 0x0
	s_bfe_u32 s4, ttmp6, 0x4000c
	s_and_b32 s5, ttmp6, 15
	s_add_co_i32 s4, s4, 1
	s_getreg_b32 s6, hwreg(HW_REG_IB_STS2, 6, 4)
	s_mul_i32 s4, ttmp9, s4
	s_delay_alu instid0(SALU_CYCLE_1) | instskip(SKIP_3) | instid1(SALU_CYCLE_1)
	s_add_co_i32 s4, s5, s4
	s_cmp_eq_u32 s6, 0
	s_mov_b32 s5, 0
	s_cselect_b32 s4, ttmp9, s4
	s_lshl_b64 s[4:5], s[4:5], 8
	s_delay_alu instid0(SALU_CYCLE_1) | instskip(SKIP_1) | instid1(VALU_DEP_1)
	v_dual_mov_b32 v5, s5 :: v_dual_bitop2_b32 v4, s4, v0 bitop3:0x54
	s_wait_kmcnt 0x0
	v_cmp_gt_i64_e32 vcc_lo, s[2:3], v[4:5]
	s_and_saveexec_b32 s2, vcc_lo
	s_cbranch_execz .LBB7_5
; %bb.1:
	s_clause 0x1
	s_load_b64 s[2:3], s[0:1], 0x8
	s_load_b256 s[4:11], s[0:1], 0x10
	s_wait_kmcnt 0x0
	v_lshl_add_u64 v[0:1], v[4:5], 3, s[2:3]
	v_cmp_lt_i64_e64 s0, s[4:5], 1
	global_load_b64 v[2:3], v[0:1], off
	s_and_b32 vcc_lo, exec_lo, s0
	s_cbranch_vccnz .LBB7_4
; %bb.2:
	v_mul_u64_e32 v[4:5], s[4:5], v[4:5]
	s_delay_alu instid0(VALU_DEP_1)
	v_lshl_add_u64 v[4:5], v[4:5], 3, s[8:9]
.LBB7_3:                                ; =>This Inner Loop Header: Depth=1
	global_load_b64 v[6:7], v[4:5], off
	s_load_b64 s[0:1], s[10:11], 0x0
	v_add_nc_u64_e32 v[4:5], 8, v[4:5]
	s_add_nc_u64 s[4:5], s[4:5], -1
	s_wait_xcnt 0x0
	s_add_nc_u64 s[10:11], s[10:11], 8
	s_cmp_lg_u64 s[4:5], 0
	s_wait_loadcnt 0x0
	v_mul_f64_e32 v[6:7], s[6:7], v[6:7]
	s_wait_kmcnt 0x0
	s_delay_alu instid0(VALU_DEP_1)
	v_fmac_f64_e32 v[2:3], s[0:1], v[6:7]
	s_cbranch_scc1 .LBB7_3
.LBB7_4:
	s_wait_loadcnt 0x0
	global_store_b64 v[0:1], v[2:3], off
.LBB7_5:
	s_endpgm
	.section	.rodata,"a",@progbits
	.p2align	6, 0x0
	.amdhsa_kernel _ZN8rajaperf9polybench19poly_gemver_234_lamILm256EZNS0_16POLYBENCH_GEMVER17runHipVariantImplILm256EEEvNS_9VariantIDEEUllE1_EEvlT0_
		.amdhsa_group_segment_fixed_size 0
		.amdhsa_private_segment_fixed_size 0
		.amdhsa_kernarg_size 48
		.amdhsa_user_sgpr_count 2
		.amdhsa_user_sgpr_dispatch_ptr 0
		.amdhsa_user_sgpr_queue_ptr 0
		.amdhsa_user_sgpr_kernarg_segment_ptr 1
		.amdhsa_user_sgpr_dispatch_id 0
		.amdhsa_user_sgpr_kernarg_preload_length 0
		.amdhsa_user_sgpr_kernarg_preload_offset 0
		.amdhsa_user_sgpr_private_segment_size 0
		.amdhsa_wavefront_size32 1
		.amdhsa_uses_dynamic_stack 0
		.amdhsa_enable_private_segment 0
		.amdhsa_system_sgpr_workgroup_id_x 1
		.amdhsa_system_sgpr_workgroup_id_y 0
		.amdhsa_system_sgpr_workgroup_id_z 0
		.amdhsa_system_sgpr_workgroup_info 0
		.amdhsa_system_vgpr_workitem_id 0
		.amdhsa_next_free_vgpr 8
		.amdhsa_next_free_sgpr 12
		.amdhsa_named_barrier_count 0
		.amdhsa_reserve_vcc 1
		.amdhsa_float_round_mode_32 0
		.amdhsa_float_round_mode_16_64 0
		.amdhsa_float_denorm_mode_32 3
		.amdhsa_float_denorm_mode_16_64 3
		.amdhsa_fp16_overflow 0
		.amdhsa_memory_ordered 1
		.amdhsa_forward_progress 1
		.amdhsa_inst_pref_size 2
		.amdhsa_round_robin_scheduling 0
		.amdhsa_exception_fp_ieee_invalid_op 0
		.amdhsa_exception_fp_denorm_src 0
		.amdhsa_exception_fp_ieee_div_zero 0
		.amdhsa_exception_fp_ieee_overflow 0
		.amdhsa_exception_fp_ieee_underflow 0
		.amdhsa_exception_fp_ieee_inexact 0
		.amdhsa_exception_int_div_zero 0
	.end_amdhsa_kernel
	.section	.text._ZN8rajaperf9polybench19poly_gemver_234_lamILm256EZNS0_16POLYBENCH_GEMVER17runHipVariantImplILm256EEEvNS_9VariantIDEEUllE1_EEvlT0_,"axG",@progbits,_ZN8rajaperf9polybench19poly_gemver_234_lamILm256EZNS0_16POLYBENCH_GEMVER17runHipVariantImplILm256EEEvNS_9VariantIDEEUllE1_EEvlT0_,comdat
.Lfunc_end7:
	.size	_ZN8rajaperf9polybench19poly_gemver_234_lamILm256EZNS0_16POLYBENCH_GEMVER17runHipVariantImplILm256EEEvNS_9VariantIDEEUllE1_EEvlT0_, .Lfunc_end7-_ZN8rajaperf9polybench19poly_gemver_234_lamILm256EZNS0_16POLYBENCH_GEMVER17runHipVariantImplILm256EEEvNS_9VariantIDEEUllE1_EEvlT0_
                                        ; -- End function
	.set _ZN8rajaperf9polybench19poly_gemver_234_lamILm256EZNS0_16POLYBENCH_GEMVER17runHipVariantImplILm256EEEvNS_9VariantIDEEUllE1_EEvlT0_.num_vgpr, 8
	.set _ZN8rajaperf9polybench19poly_gemver_234_lamILm256EZNS0_16POLYBENCH_GEMVER17runHipVariantImplILm256EEEvNS_9VariantIDEEUllE1_EEvlT0_.num_agpr, 0
	.set _ZN8rajaperf9polybench19poly_gemver_234_lamILm256EZNS0_16POLYBENCH_GEMVER17runHipVariantImplILm256EEEvNS_9VariantIDEEUllE1_EEvlT0_.numbered_sgpr, 12
	.set _ZN8rajaperf9polybench19poly_gemver_234_lamILm256EZNS0_16POLYBENCH_GEMVER17runHipVariantImplILm256EEEvNS_9VariantIDEEUllE1_EEvlT0_.num_named_barrier, 0
	.set _ZN8rajaperf9polybench19poly_gemver_234_lamILm256EZNS0_16POLYBENCH_GEMVER17runHipVariantImplILm256EEEvNS_9VariantIDEEUllE1_EEvlT0_.private_seg_size, 0
	.set _ZN8rajaperf9polybench19poly_gemver_234_lamILm256EZNS0_16POLYBENCH_GEMVER17runHipVariantImplILm256EEEvNS_9VariantIDEEUllE1_EEvlT0_.uses_vcc, 1
	.set _ZN8rajaperf9polybench19poly_gemver_234_lamILm256EZNS0_16POLYBENCH_GEMVER17runHipVariantImplILm256EEEvNS_9VariantIDEEUllE1_EEvlT0_.uses_flat_scratch, 0
	.set _ZN8rajaperf9polybench19poly_gemver_234_lamILm256EZNS0_16POLYBENCH_GEMVER17runHipVariantImplILm256EEEvNS_9VariantIDEEUllE1_EEvlT0_.has_dyn_sized_stack, 0
	.set _ZN8rajaperf9polybench19poly_gemver_234_lamILm256EZNS0_16POLYBENCH_GEMVER17runHipVariantImplILm256EEEvNS_9VariantIDEEUllE1_EEvlT0_.has_recursion, 0
	.set _ZN8rajaperf9polybench19poly_gemver_234_lamILm256EZNS0_16POLYBENCH_GEMVER17runHipVariantImplILm256EEEvNS_9VariantIDEEUllE1_EEvlT0_.has_indirect_call, 0
	.section	.AMDGPU.csdata,"",@progbits
; Kernel info:
; codeLenInByte = 248
; TotalNumSgprs: 14
; NumVgprs: 8
; ScratchSize: 0
; MemoryBound: 0
; FloatMode: 240
; IeeeMode: 1
; LDSByteSize: 0 bytes/workgroup (compile time only)
; SGPRBlocks: 0
; VGPRBlocks: 0
; NumSGPRsForWavesPerEU: 14
; NumVGPRsForWavesPerEU: 8
; NamedBarCnt: 0
; Occupancy: 16
; WaveLimiterHint : 0
; COMPUTE_PGM_RSRC2:SCRATCH_EN: 0
; COMPUTE_PGM_RSRC2:USER_SGPR: 2
; COMPUTE_PGM_RSRC2:TRAP_HANDLER: 0
; COMPUTE_PGM_RSRC2:TGID_X_EN: 1
; COMPUTE_PGM_RSRC2:TGID_Y_EN: 0
; COMPUTE_PGM_RSRC2:TGID_Z_EN: 0
; COMPUTE_PGM_RSRC2:TIDIG_COMP_CNT: 0
	.section	.text._ZN4RAJA8internal22HipKernelLauncherFixedILi256ENS0_8LoopDataIN4camp5tupleIJNS_4SpanINS_9Iterators16numeric_iteratorIllPlEElEESA_EEENS4_IJEEENS3_9resources2v13HipEJZN8rajaperf9polybench16POLYBENCH_GEMVER17runHipVariantImplILm256EEEvNSG_9VariantIDEEUlllE0_EEENS0_24HipStatementListExecutorISM_NS3_4listIJNS_9statement3ForILl0ENS_6policy3hip11hip_indexerINS_17iteration_mapping6DirectELNS_23kernel_sync_requirementE0EJNS_3hip11IndexGlobalILNS_9named_dimE1ELi8ELi0EEEEEEJNSQ_ILl1ENST_ISV_LSW_0EJNSY_ILSZ_0ELi32ELi0EEEEEEJNSP_6LambdaILl0EJEEEEEEEEEEEENS0_9LoopTypesINSO_IJvvEEES1A_EEEEEEvT0_,"axG",@progbits,_ZN4RAJA8internal22HipKernelLauncherFixedILi256ENS0_8LoopDataIN4camp5tupleIJNS_4SpanINS_9Iterators16numeric_iteratorIllPlEElEESA_EEENS4_IJEEENS3_9resources2v13HipEJZN8rajaperf9polybench16POLYBENCH_GEMVER17runHipVariantImplILm256EEEvNSG_9VariantIDEEUlllE0_EEENS0_24HipStatementListExecutorISM_NS3_4listIJNS_9statement3ForILl0ENS_6policy3hip11hip_indexerINS_17iteration_mapping6DirectELNS_23kernel_sync_requirementE0EJNS_3hip11IndexGlobalILNS_9named_dimE1ELi8ELi0EEEEEEJNSQ_ILl1ENST_ISV_LSW_0EJNSY_ILSZ_0ELi32ELi0EEEEEEJNSP_6LambdaILl0EJEEEEEEEEEEEENS0_9LoopTypesINSO_IJvvEEES1A_EEEEEEvT0_,comdat
	.protected	_ZN4RAJA8internal22HipKernelLauncherFixedILi256ENS0_8LoopDataIN4camp5tupleIJNS_4SpanINS_9Iterators16numeric_iteratorIllPlEElEESA_EEENS4_IJEEENS3_9resources2v13HipEJZN8rajaperf9polybench16POLYBENCH_GEMVER17runHipVariantImplILm256EEEvNSG_9VariantIDEEUlllE0_EEENS0_24HipStatementListExecutorISM_NS3_4listIJNS_9statement3ForILl0ENS_6policy3hip11hip_indexerINS_17iteration_mapping6DirectELNS_23kernel_sync_requirementE0EJNS_3hip11IndexGlobalILNS_9named_dimE1ELi8ELi0EEEEEEJNSQ_ILl1ENST_ISV_LSW_0EJNSY_ILSZ_0ELi32ELi0EEEEEEJNSP_6LambdaILl0EJEEEEEEEEEEEENS0_9LoopTypesINSO_IJvvEEES1A_EEEEEEvT0_ ; -- Begin function _ZN4RAJA8internal22HipKernelLauncherFixedILi256ENS0_8LoopDataIN4camp5tupleIJNS_4SpanINS_9Iterators16numeric_iteratorIllPlEElEESA_EEENS4_IJEEENS3_9resources2v13HipEJZN8rajaperf9polybench16POLYBENCH_GEMVER17runHipVariantImplILm256EEEvNSG_9VariantIDEEUlllE0_EEENS0_24HipStatementListExecutorISM_NS3_4listIJNS_9statement3ForILl0ENS_6policy3hip11hip_indexerINS_17iteration_mapping6DirectELNS_23kernel_sync_requirementE0EJNS_3hip11IndexGlobalILNS_9named_dimE1ELi8ELi0EEEEEEJNSQ_ILl1ENST_ISV_LSW_0EJNSY_ILSZ_0ELi32ELi0EEEEEEJNSP_6LambdaILl0EJEEEEEEEEEEEENS0_9LoopTypesINSO_IJvvEEES1A_EEEEEEvT0_
	.globl	_ZN4RAJA8internal22HipKernelLauncherFixedILi256ENS0_8LoopDataIN4camp5tupleIJNS_4SpanINS_9Iterators16numeric_iteratorIllPlEElEESA_EEENS4_IJEEENS3_9resources2v13HipEJZN8rajaperf9polybench16POLYBENCH_GEMVER17runHipVariantImplILm256EEEvNSG_9VariantIDEEUlllE0_EEENS0_24HipStatementListExecutorISM_NS3_4listIJNS_9statement3ForILl0ENS_6policy3hip11hip_indexerINS_17iteration_mapping6DirectELNS_23kernel_sync_requirementE0EJNS_3hip11IndexGlobalILNS_9named_dimE1ELi8ELi0EEEEEEJNSQ_ILl1ENST_ISV_LSW_0EJNSY_ILSZ_0ELi32ELi0EEEEEEJNSP_6LambdaILl0EJEEEEEEEEEEEENS0_9LoopTypesINSO_IJvvEEES1A_EEEEEEvT0_
	.p2align	8
	.type	_ZN4RAJA8internal22HipKernelLauncherFixedILi256ENS0_8LoopDataIN4camp5tupleIJNS_4SpanINS_9Iterators16numeric_iteratorIllPlEElEESA_EEENS4_IJEEENS3_9resources2v13HipEJZN8rajaperf9polybench16POLYBENCH_GEMVER17runHipVariantImplILm256EEEvNSG_9VariantIDEEUlllE0_EEENS0_24HipStatementListExecutorISM_NS3_4listIJNS_9statement3ForILl0ENS_6policy3hip11hip_indexerINS_17iteration_mapping6DirectELNS_23kernel_sync_requirementE0EJNS_3hip11IndexGlobalILNS_9named_dimE1ELi8ELi0EEEEEEJNSQ_ILl1ENST_ISV_LSW_0EJNSY_ILSZ_0ELi32ELi0EEEEEEJNSP_6LambdaILl0EJEEEEEEEEEEEENS0_9LoopTypesINSO_IJvvEEES1A_EEEEEEvT0_,@function
_ZN4RAJA8internal22HipKernelLauncherFixedILi256ENS0_8LoopDataIN4camp5tupleIJNS_4SpanINS_9Iterators16numeric_iteratorIllPlEElEESA_EEENS4_IJEEENS3_9resources2v13HipEJZN8rajaperf9polybench16POLYBENCH_GEMVER17runHipVariantImplILm256EEEvNSG_9VariantIDEEUlllE0_EEENS0_24HipStatementListExecutorISM_NS3_4listIJNS_9statement3ForILl0ENS_6policy3hip11hip_indexerINS_17iteration_mapping6DirectELNS_23kernel_sync_requirementE0EJNS_3hip11IndexGlobalILNS_9named_dimE1ELi8ELi0EEEEEEJNSQ_ILl1ENST_ISV_LSW_0EJNSY_ILSZ_0ELi32ELi0EEEEEEJNSP_6LambdaILl0EJEEEEEEEEEEEENS0_9LoopTypesINSO_IJvvEEES1A_EEEEEEvT0_: ; @_ZN4RAJA8internal22HipKernelLauncherFixedILi256ENS0_8LoopDataIN4camp5tupleIJNS_4SpanINS_9Iterators16numeric_iteratorIllPlEElEESA_EEENS4_IJEEENS3_9resources2v13HipEJZN8rajaperf9polybench16POLYBENCH_GEMVER17runHipVariantImplILm256EEEvNSG_9VariantIDEEUlllE0_EEENS0_24HipStatementListExecutorISM_NS3_4listIJNS_9statement3ForILl0ENS_6policy3hip11hip_indexerINS_17iteration_mapping6DirectELNS_23kernel_sync_requirementE0EJNS_3hip11IndexGlobalILNS_9named_dimE1ELi8ELi0EEEEEEJNSQ_ILl1ENST_ISV_LSW_0EJNSY_ILSZ_0ELi32ELi0EEEEEEJNSP_6LambdaILl0EJEEEEEEEEEEEENS0_9LoopTypesINSO_IJvvEEES1A_EEEEEEvT0_
; %bb.0:
	s_bfe_u32 s2, ttmp6, 0x4000c
	s_bfe_u32 s12, ttmp6, 0x40010
	s_add_co_i32 s2, s2, 1
	s_load_b256 s[4:11], s[0:1], 0x0
	s_and_b32 s3, ttmp6, 15
	s_mul_i32 s2, ttmp9, s2
	s_add_co_i32 s12, s12, 1
	s_add_co_i32 s13, s3, s2
	s_mul_i32 s2, ttmp7, s12
	s_bfe_u32 s3, ttmp6, 0x40004
	s_getreg_b32 s12, hwreg(HW_REG_IB_STS2, 6, 4)
	v_mov_b32_e32 v5, 0
	v_bfe_u32 v4, v0, 10, 10
	s_add_co_i32 s2, s3, s2
	s_cmp_eq_u32 s12, 0
	s_mov_b32 s3, 0
	s_cselect_b32 s2, ttmp7, s2
	s_delay_alu instid0(SALU_CYCLE_1) | instskip(SKIP_2) | instid1(SALU_CYCLE_1)
	v_lshl_add_u64 v[2:3], s[2:3], 3, v[4:5]
	v_and_b32_e32 v4, 0x3ff, v0
	s_cselect_b32 s2, ttmp9, s13
	s_lshl_b64 s[2:3], s[2:3], 5
	s_delay_alu instid0(VALU_DEP_1) | instid1(SALU_CYCLE_1)
	v_add_nc_u64_e32 v[0:1], s[2:3], v[4:5]
	s_wait_kmcnt 0x0
	s_sub_nc_u64 s[2:3], s[6:7], s[4:5]
	s_sub_nc_u64 s[6:7], s[10:11], s[8:9]
	v_cmp_gt_i64_e32 vcc_lo, s[2:3], v[2:3]
	s_delay_alu instid0(VALU_DEP_2) | instskip(SKIP_1) | instid1(SALU_CYCLE_1)
	v_cmp_gt_i64_e64 s2, s[6:7], v[0:1]
	s_and_b32 s2, vcc_lo, s2
	s_and_saveexec_b32 s3, s2
	s_cbranch_execz .LBB8_2
; %bb.1:
	s_clause 0x1
	s_load_b64 s[2:3], s[0:1], 0xd0
	s_load_b64 s[6:7], s[0:1], 0xf8
	v_add_nc_u64_e32 v[2:3], s[4:5], v[2:3]
	v_add_nc_u64_e32 v[0:1], s[8:9], v[0:1]
	s_delay_alu instid0(VALU_DEP_2) | instskip(NEXT) | instid1(VALU_DEP_2)
	v_lshlrev_b64_e32 v[4:5], 3, v[2:3]
	v_lshlrev_b64_e32 v[0:1], 3, v[0:1]
	s_wait_kmcnt 0x0
	s_delay_alu instid0(VALU_DEP_2) | instskip(NEXT) | instid1(VALU_DEP_2)
	v_add_nc_u64_e32 v[6:7], s[2:3], v[4:5]
	v_add_nc_u64_e32 v[8:9], s[6:7], v[0:1]
	global_load_b64 v[10:11], v[6:7], off
	global_load_b64 v[12:13], v[8:9], off
	s_clause 0x2
	s_load_b64 s[2:3], s[0:1], 0x80
	s_load_b64 s[4:5], s[0:1], 0xa8
	s_load_b64 s[6:7], s[0:1], 0x50
	s_wait_kmcnt 0x0
	v_add_nc_u64_e32 v[4:5], s[2:3], v[4:5]
	v_add_nc_u64_e32 v[6:7], s[4:5], v[0:1]
	v_mul_u64_e32 v[2:3], s[6:7], v[2:3]
	s_load_b64 s[0:1], s[0:1], 0x38
	global_load_b64 v[8:9], v[4:5], off
	global_load_b64 v[14:15], v[6:7], off
	s_wait_kmcnt 0x0
	v_add_nc_u64_e32 v[0:1], s[0:1], v[0:1]
	s_delay_alu instid0(VALU_DEP_1)
	v_lshl_add_u64 v[0:1], v[2:3], 3, v[0:1]
	global_load_b64 v[2:3], v[0:1], off
	s_wait_loadcnt 0x3
	s_wait_xcnt 0x2
	v_mul_f64_e32 v[4:5], v[10:11], v[12:13]
	s_wait_loadcnt 0x1
	s_delay_alu instid0(VALU_DEP_1) | instskip(SKIP_1) | instid1(VALU_DEP_1)
	v_fmac_f64_e32 v[4:5], v[8:9], v[14:15]
	s_wait_loadcnt 0x0
	v_add_f64_e32 v[2:3], v[2:3], v[4:5]
	global_store_b64 v[0:1], v[2:3], off
.LBB8_2:
	s_endpgm
	.section	.rodata,"a",@progbits
	.p2align	6, 0x0
	.amdhsa_kernel _ZN4RAJA8internal22HipKernelLauncherFixedILi256ENS0_8LoopDataIN4camp5tupleIJNS_4SpanINS_9Iterators16numeric_iteratorIllPlEElEESA_EEENS4_IJEEENS3_9resources2v13HipEJZN8rajaperf9polybench16POLYBENCH_GEMVER17runHipVariantImplILm256EEEvNSG_9VariantIDEEUlllE0_EEENS0_24HipStatementListExecutorISM_NS3_4listIJNS_9statement3ForILl0ENS_6policy3hip11hip_indexerINS_17iteration_mapping6DirectELNS_23kernel_sync_requirementE0EJNS_3hip11IndexGlobalILNS_9named_dimE1ELi8ELi0EEEEEEJNSQ_ILl1ENST_ISV_LSW_0EJNSY_ILSZ_0ELi32ELi0EEEEEEJNSP_6LambdaILl0EJEEEEEEEEEEEENS0_9LoopTypesINSO_IJvvEEES1A_EEEEEEvT0_
		.amdhsa_group_segment_fixed_size 0
		.amdhsa_private_segment_fixed_size 0
		.amdhsa_kernarg_size 312
		.amdhsa_user_sgpr_count 2
		.amdhsa_user_sgpr_dispatch_ptr 0
		.amdhsa_user_sgpr_queue_ptr 0
		.amdhsa_user_sgpr_kernarg_segment_ptr 1
		.amdhsa_user_sgpr_dispatch_id 0
		.amdhsa_user_sgpr_kernarg_preload_length 0
		.amdhsa_user_sgpr_kernarg_preload_offset 0
		.amdhsa_user_sgpr_private_segment_size 0
		.amdhsa_wavefront_size32 1
		.amdhsa_uses_dynamic_stack 0
		.amdhsa_enable_private_segment 0
		.amdhsa_system_sgpr_workgroup_id_x 1
		.amdhsa_system_sgpr_workgroup_id_y 1
		.amdhsa_system_sgpr_workgroup_id_z 0
		.amdhsa_system_sgpr_workgroup_info 0
		.amdhsa_system_vgpr_workitem_id 1
		.amdhsa_next_free_vgpr 16
		.amdhsa_next_free_sgpr 14
		.amdhsa_named_barrier_count 0
		.amdhsa_reserve_vcc 1
		.amdhsa_float_round_mode_32 0
		.amdhsa_float_round_mode_16_64 0
		.amdhsa_float_denorm_mode_32 3
		.amdhsa_float_denorm_mode_16_64 3
		.amdhsa_fp16_overflow 0
		.amdhsa_memory_ordered 1
		.amdhsa_forward_progress 1
		.amdhsa_inst_pref_size 4
		.amdhsa_round_robin_scheduling 0
		.amdhsa_exception_fp_ieee_invalid_op 0
		.amdhsa_exception_fp_denorm_src 0
		.amdhsa_exception_fp_ieee_div_zero 0
		.amdhsa_exception_fp_ieee_overflow 0
		.amdhsa_exception_fp_ieee_underflow 0
		.amdhsa_exception_fp_ieee_inexact 0
		.amdhsa_exception_int_div_zero 0
	.end_amdhsa_kernel
	.section	.text._ZN4RAJA8internal22HipKernelLauncherFixedILi256ENS0_8LoopDataIN4camp5tupleIJNS_4SpanINS_9Iterators16numeric_iteratorIllPlEElEESA_EEENS4_IJEEENS3_9resources2v13HipEJZN8rajaperf9polybench16POLYBENCH_GEMVER17runHipVariantImplILm256EEEvNSG_9VariantIDEEUlllE0_EEENS0_24HipStatementListExecutorISM_NS3_4listIJNS_9statement3ForILl0ENS_6policy3hip11hip_indexerINS_17iteration_mapping6DirectELNS_23kernel_sync_requirementE0EJNS_3hip11IndexGlobalILNS_9named_dimE1ELi8ELi0EEEEEEJNSQ_ILl1ENST_ISV_LSW_0EJNSY_ILSZ_0ELi32ELi0EEEEEEJNSP_6LambdaILl0EJEEEEEEEEEEEENS0_9LoopTypesINSO_IJvvEEES1A_EEEEEEvT0_,"axG",@progbits,_ZN4RAJA8internal22HipKernelLauncherFixedILi256ENS0_8LoopDataIN4camp5tupleIJNS_4SpanINS_9Iterators16numeric_iteratorIllPlEElEESA_EEENS4_IJEEENS3_9resources2v13HipEJZN8rajaperf9polybench16POLYBENCH_GEMVER17runHipVariantImplILm256EEEvNSG_9VariantIDEEUlllE0_EEENS0_24HipStatementListExecutorISM_NS3_4listIJNS_9statement3ForILl0ENS_6policy3hip11hip_indexerINS_17iteration_mapping6DirectELNS_23kernel_sync_requirementE0EJNS_3hip11IndexGlobalILNS_9named_dimE1ELi8ELi0EEEEEEJNSQ_ILl1ENST_ISV_LSW_0EJNSY_ILSZ_0ELi32ELi0EEEEEEJNSP_6LambdaILl0EJEEEEEEEEEEEENS0_9LoopTypesINSO_IJvvEEES1A_EEEEEEvT0_,comdat
.Lfunc_end8:
	.size	_ZN4RAJA8internal22HipKernelLauncherFixedILi256ENS0_8LoopDataIN4camp5tupleIJNS_4SpanINS_9Iterators16numeric_iteratorIllPlEElEESA_EEENS4_IJEEENS3_9resources2v13HipEJZN8rajaperf9polybench16POLYBENCH_GEMVER17runHipVariantImplILm256EEEvNSG_9VariantIDEEUlllE0_EEENS0_24HipStatementListExecutorISM_NS3_4listIJNS_9statement3ForILl0ENS_6policy3hip11hip_indexerINS_17iteration_mapping6DirectELNS_23kernel_sync_requirementE0EJNS_3hip11IndexGlobalILNS_9named_dimE1ELi8ELi0EEEEEEJNSQ_ILl1ENST_ISV_LSW_0EJNSY_ILSZ_0ELi32ELi0EEEEEEJNSP_6LambdaILl0EJEEEEEEEEEEEENS0_9LoopTypesINSO_IJvvEEES1A_EEEEEEvT0_, .Lfunc_end8-_ZN4RAJA8internal22HipKernelLauncherFixedILi256ENS0_8LoopDataIN4camp5tupleIJNS_4SpanINS_9Iterators16numeric_iteratorIllPlEElEESA_EEENS4_IJEEENS3_9resources2v13HipEJZN8rajaperf9polybench16POLYBENCH_GEMVER17runHipVariantImplILm256EEEvNSG_9VariantIDEEUlllE0_EEENS0_24HipStatementListExecutorISM_NS3_4listIJNS_9statement3ForILl0ENS_6policy3hip11hip_indexerINS_17iteration_mapping6DirectELNS_23kernel_sync_requirementE0EJNS_3hip11IndexGlobalILNS_9named_dimE1ELi8ELi0EEEEEEJNSQ_ILl1ENST_ISV_LSW_0EJNSY_ILSZ_0ELi32ELi0EEEEEEJNSP_6LambdaILl0EJEEEEEEEEEEEENS0_9LoopTypesINSO_IJvvEEES1A_EEEEEEvT0_
                                        ; -- End function
	.set _ZN4RAJA8internal22HipKernelLauncherFixedILi256ENS0_8LoopDataIN4camp5tupleIJNS_4SpanINS_9Iterators16numeric_iteratorIllPlEElEESA_EEENS4_IJEEENS3_9resources2v13HipEJZN8rajaperf9polybench16POLYBENCH_GEMVER17runHipVariantImplILm256EEEvNSG_9VariantIDEEUlllE0_EEENS0_24HipStatementListExecutorISM_NS3_4listIJNS_9statement3ForILl0ENS_6policy3hip11hip_indexerINS_17iteration_mapping6DirectELNS_23kernel_sync_requirementE0EJNS_3hip11IndexGlobalILNS_9named_dimE1ELi8ELi0EEEEEEJNSQ_ILl1ENST_ISV_LSW_0EJNSY_ILSZ_0ELi32ELi0EEEEEEJNSP_6LambdaILl0EJEEEEEEEEEEEENS0_9LoopTypesINSO_IJvvEEES1A_EEEEEEvT0_.num_vgpr, 16
	.set _ZN4RAJA8internal22HipKernelLauncherFixedILi256ENS0_8LoopDataIN4camp5tupleIJNS_4SpanINS_9Iterators16numeric_iteratorIllPlEElEESA_EEENS4_IJEEENS3_9resources2v13HipEJZN8rajaperf9polybench16POLYBENCH_GEMVER17runHipVariantImplILm256EEEvNSG_9VariantIDEEUlllE0_EEENS0_24HipStatementListExecutorISM_NS3_4listIJNS_9statement3ForILl0ENS_6policy3hip11hip_indexerINS_17iteration_mapping6DirectELNS_23kernel_sync_requirementE0EJNS_3hip11IndexGlobalILNS_9named_dimE1ELi8ELi0EEEEEEJNSQ_ILl1ENST_ISV_LSW_0EJNSY_ILSZ_0ELi32ELi0EEEEEEJNSP_6LambdaILl0EJEEEEEEEEEEEENS0_9LoopTypesINSO_IJvvEEES1A_EEEEEEvT0_.num_agpr, 0
	.set _ZN4RAJA8internal22HipKernelLauncherFixedILi256ENS0_8LoopDataIN4camp5tupleIJNS_4SpanINS_9Iterators16numeric_iteratorIllPlEElEESA_EEENS4_IJEEENS3_9resources2v13HipEJZN8rajaperf9polybench16POLYBENCH_GEMVER17runHipVariantImplILm256EEEvNSG_9VariantIDEEUlllE0_EEENS0_24HipStatementListExecutorISM_NS3_4listIJNS_9statement3ForILl0ENS_6policy3hip11hip_indexerINS_17iteration_mapping6DirectELNS_23kernel_sync_requirementE0EJNS_3hip11IndexGlobalILNS_9named_dimE1ELi8ELi0EEEEEEJNSQ_ILl1ENST_ISV_LSW_0EJNSY_ILSZ_0ELi32ELi0EEEEEEJNSP_6LambdaILl0EJEEEEEEEEEEEENS0_9LoopTypesINSO_IJvvEEES1A_EEEEEEvT0_.numbered_sgpr, 14
	.set _ZN4RAJA8internal22HipKernelLauncherFixedILi256ENS0_8LoopDataIN4camp5tupleIJNS_4SpanINS_9Iterators16numeric_iteratorIllPlEElEESA_EEENS4_IJEEENS3_9resources2v13HipEJZN8rajaperf9polybench16POLYBENCH_GEMVER17runHipVariantImplILm256EEEvNSG_9VariantIDEEUlllE0_EEENS0_24HipStatementListExecutorISM_NS3_4listIJNS_9statement3ForILl0ENS_6policy3hip11hip_indexerINS_17iteration_mapping6DirectELNS_23kernel_sync_requirementE0EJNS_3hip11IndexGlobalILNS_9named_dimE1ELi8ELi0EEEEEEJNSQ_ILl1ENST_ISV_LSW_0EJNSY_ILSZ_0ELi32ELi0EEEEEEJNSP_6LambdaILl0EJEEEEEEEEEEEENS0_9LoopTypesINSO_IJvvEEES1A_EEEEEEvT0_.num_named_barrier, 0
	.set _ZN4RAJA8internal22HipKernelLauncherFixedILi256ENS0_8LoopDataIN4camp5tupleIJNS_4SpanINS_9Iterators16numeric_iteratorIllPlEElEESA_EEENS4_IJEEENS3_9resources2v13HipEJZN8rajaperf9polybench16POLYBENCH_GEMVER17runHipVariantImplILm256EEEvNSG_9VariantIDEEUlllE0_EEENS0_24HipStatementListExecutorISM_NS3_4listIJNS_9statement3ForILl0ENS_6policy3hip11hip_indexerINS_17iteration_mapping6DirectELNS_23kernel_sync_requirementE0EJNS_3hip11IndexGlobalILNS_9named_dimE1ELi8ELi0EEEEEEJNSQ_ILl1ENST_ISV_LSW_0EJNSY_ILSZ_0ELi32ELi0EEEEEEJNSP_6LambdaILl0EJEEEEEEEEEEEENS0_9LoopTypesINSO_IJvvEEES1A_EEEEEEvT0_.private_seg_size, 0
	.set _ZN4RAJA8internal22HipKernelLauncherFixedILi256ENS0_8LoopDataIN4camp5tupleIJNS_4SpanINS_9Iterators16numeric_iteratorIllPlEElEESA_EEENS4_IJEEENS3_9resources2v13HipEJZN8rajaperf9polybench16POLYBENCH_GEMVER17runHipVariantImplILm256EEEvNSG_9VariantIDEEUlllE0_EEENS0_24HipStatementListExecutorISM_NS3_4listIJNS_9statement3ForILl0ENS_6policy3hip11hip_indexerINS_17iteration_mapping6DirectELNS_23kernel_sync_requirementE0EJNS_3hip11IndexGlobalILNS_9named_dimE1ELi8ELi0EEEEEEJNSQ_ILl1ENST_ISV_LSW_0EJNSY_ILSZ_0ELi32ELi0EEEEEEJNSP_6LambdaILl0EJEEEEEEEEEEEENS0_9LoopTypesINSO_IJvvEEES1A_EEEEEEvT0_.uses_vcc, 1
	.set _ZN4RAJA8internal22HipKernelLauncherFixedILi256ENS0_8LoopDataIN4camp5tupleIJNS_4SpanINS_9Iterators16numeric_iteratorIllPlEElEESA_EEENS4_IJEEENS3_9resources2v13HipEJZN8rajaperf9polybench16POLYBENCH_GEMVER17runHipVariantImplILm256EEEvNSG_9VariantIDEEUlllE0_EEENS0_24HipStatementListExecutorISM_NS3_4listIJNS_9statement3ForILl0ENS_6policy3hip11hip_indexerINS_17iteration_mapping6DirectELNS_23kernel_sync_requirementE0EJNS_3hip11IndexGlobalILNS_9named_dimE1ELi8ELi0EEEEEEJNSQ_ILl1ENST_ISV_LSW_0EJNSY_ILSZ_0ELi32ELi0EEEEEEJNSP_6LambdaILl0EJEEEEEEEEEEEENS0_9LoopTypesINSO_IJvvEEES1A_EEEEEEvT0_.uses_flat_scratch, 0
	.set _ZN4RAJA8internal22HipKernelLauncherFixedILi256ENS0_8LoopDataIN4camp5tupleIJNS_4SpanINS_9Iterators16numeric_iteratorIllPlEElEESA_EEENS4_IJEEENS3_9resources2v13HipEJZN8rajaperf9polybench16POLYBENCH_GEMVER17runHipVariantImplILm256EEEvNSG_9VariantIDEEUlllE0_EEENS0_24HipStatementListExecutorISM_NS3_4listIJNS_9statement3ForILl0ENS_6policy3hip11hip_indexerINS_17iteration_mapping6DirectELNS_23kernel_sync_requirementE0EJNS_3hip11IndexGlobalILNS_9named_dimE1ELi8ELi0EEEEEEJNSQ_ILl1ENST_ISV_LSW_0EJNSY_ILSZ_0ELi32ELi0EEEEEEJNSP_6LambdaILl0EJEEEEEEEEEEEENS0_9LoopTypesINSO_IJvvEEES1A_EEEEEEvT0_.has_dyn_sized_stack, 0
	.set _ZN4RAJA8internal22HipKernelLauncherFixedILi256ENS0_8LoopDataIN4camp5tupleIJNS_4SpanINS_9Iterators16numeric_iteratorIllPlEElEESA_EEENS4_IJEEENS3_9resources2v13HipEJZN8rajaperf9polybench16POLYBENCH_GEMVER17runHipVariantImplILm256EEEvNSG_9VariantIDEEUlllE0_EEENS0_24HipStatementListExecutorISM_NS3_4listIJNS_9statement3ForILl0ENS_6policy3hip11hip_indexerINS_17iteration_mapping6DirectELNS_23kernel_sync_requirementE0EJNS_3hip11IndexGlobalILNS_9named_dimE1ELi8ELi0EEEEEEJNSQ_ILl1ENST_ISV_LSW_0EJNSY_ILSZ_0ELi32ELi0EEEEEEJNSP_6LambdaILl0EJEEEEEEEEEEEENS0_9LoopTypesINSO_IJvvEEES1A_EEEEEEvT0_.has_recursion, 0
	.set _ZN4RAJA8internal22HipKernelLauncherFixedILi256ENS0_8LoopDataIN4camp5tupleIJNS_4SpanINS_9Iterators16numeric_iteratorIllPlEElEESA_EEENS4_IJEEENS3_9resources2v13HipEJZN8rajaperf9polybench16POLYBENCH_GEMVER17runHipVariantImplILm256EEEvNSG_9VariantIDEEUlllE0_EEENS0_24HipStatementListExecutorISM_NS3_4listIJNS_9statement3ForILl0ENS_6policy3hip11hip_indexerINS_17iteration_mapping6DirectELNS_23kernel_sync_requirementE0EJNS_3hip11IndexGlobalILNS_9named_dimE1ELi8ELi0EEEEEEJNSQ_ILl1ENST_ISV_LSW_0EJNSY_ILSZ_0ELi32ELi0EEEEEEJNSP_6LambdaILl0EJEEEEEEEEEEEENS0_9LoopTypesINSO_IJvvEEES1A_EEEEEEvT0_.has_indirect_call, 0
	.section	.AMDGPU.csdata,"",@progbits
; Kernel info:
; codeLenInByte = 400
; TotalNumSgprs: 16
; NumVgprs: 16
; ScratchSize: 0
; MemoryBound: 0
; FloatMode: 240
; IeeeMode: 1
; LDSByteSize: 0 bytes/workgroup (compile time only)
; SGPRBlocks: 0
; VGPRBlocks: 0
; NumSGPRsForWavesPerEU: 16
; NumVGPRsForWavesPerEU: 16
; NamedBarCnt: 0
; Occupancy: 16
; WaveLimiterHint : 0
; COMPUTE_PGM_RSRC2:SCRATCH_EN: 0
; COMPUTE_PGM_RSRC2:USER_SGPR: 2
; COMPUTE_PGM_RSRC2:TRAP_HANDLER: 0
; COMPUTE_PGM_RSRC2:TGID_X_EN: 1
; COMPUTE_PGM_RSRC2:TGID_Y_EN: 1
; COMPUTE_PGM_RSRC2:TGID_Z_EN: 0
; COMPUTE_PGM_RSRC2:TIDIG_COMP_CNT: 1
	.section	.text._ZN4RAJA8internal22HipKernelLauncherFixedILi256ENS0_8LoopDataIN4camp5tupleIJNS_4SpanINS_9Iterators16numeric_iteratorIllPlEElEESA_EEENS4_IJdEEENS3_9resources2v13HipEJZN8rajaperf9polybench16POLYBENCH_GEMVER17runHipVariantImplILm256EEEvNSG_9VariantIDEEUllRdE_ZNSJ_ILm256EEEvSK_EUlllSL_E_ZNSJ_ILm256EEEvSK_EUllSL_E0_EEENS0_24HipStatementListExecutorISP_NS3_4listIJNS_9statement3ForILl0ENS_6policy3hip11hip_indexerINS_17iteration_mapping6DirectELNS_23kernel_sync_requirementE0EJNS_3hip11IndexGlobalILNS_9named_dimE0ELi256ELi0EEEEEEJNSS_6LambdaILl0EJNSR_IJNS0_9LambdaArgINS0_16lambda_arg_seg_tELl0EEEEEENSR_IJNS16_INS0_18lambda_arg_param_tELl0EEEEEEEEENST_ILl1ENSU_10sequential8seq_execEJNS15_ILl1EJNSR_IJS18_NS16_IS17_Ll1EEEEEES1C_EEEEEENS15_ILl2EJS19_S1C_EEEEEEEEENS0_9LoopTypesINSR_IJvvEEES1O_EEEEEEvT0_,"axG",@progbits,_ZN4RAJA8internal22HipKernelLauncherFixedILi256ENS0_8LoopDataIN4camp5tupleIJNS_4SpanINS_9Iterators16numeric_iteratorIllPlEElEESA_EEENS4_IJdEEENS3_9resources2v13HipEJZN8rajaperf9polybench16POLYBENCH_GEMVER17runHipVariantImplILm256EEEvNSG_9VariantIDEEUllRdE_ZNSJ_ILm256EEEvSK_EUlllSL_E_ZNSJ_ILm256EEEvSK_EUllSL_E0_EEENS0_24HipStatementListExecutorISP_NS3_4listIJNS_9statement3ForILl0ENS_6policy3hip11hip_indexerINS_17iteration_mapping6DirectELNS_23kernel_sync_requirementE0EJNS_3hip11IndexGlobalILNS_9named_dimE0ELi256ELi0EEEEEEJNSS_6LambdaILl0EJNSR_IJNS0_9LambdaArgINS0_16lambda_arg_seg_tELl0EEEEEENSR_IJNS16_INS0_18lambda_arg_param_tELl0EEEEEEEEENST_ILl1ENSU_10sequential8seq_execEJNS15_ILl1EJNSR_IJS18_NS16_IS17_Ll1EEEEEES1C_EEEEEENS15_ILl2EJS19_S1C_EEEEEEEEENS0_9LoopTypesINSR_IJvvEEES1O_EEEEEEvT0_,comdat
	.protected	_ZN4RAJA8internal22HipKernelLauncherFixedILi256ENS0_8LoopDataIN4camp5tupleIJNS_4SpanINS_9Iterators16numeric_iteratorIllPlEElEESA_EEENS4_IJdEEENS3_9resources2v13HipEJZN8rajaperf9polybench16POLYBENCH_GEMVER17runHipVariantImplILm256EEEvNSG_9VariantIDEEUllRdE_ZNSJ_ILm256EEEvSK_EUlllSL_E_ZNSJ_ILm256EEEvSK_EUllSL_E0_EEENS0_24HipStatementListExecutorISP_NS3_4listIJNS_9statement3ForILl0ENS_6policy3hip11hip_indexerINS_17iteration_mapping6DirectELNS_23kernel_sync_requirementE0EJNS_3hip11IndexGlobalILNS_9named_dimE0ELi256ELi0EEEEEEJNSS_6LambdaILl0EJNSR_IJNS0_9LambdaArgINS0_16lambda_arg_seg_tELl0EEEEEENSR_IJNS16_INS0_18lambda_arg_param_tELl0EEEEEEEEENST_ILl1ENSU_10sequential8seq_execEJNS15_ILl1EJNSR_IJS18_NS16_IS17_Ll1EEEEEES1C_EEEEEENS15_ILl2EJS19_S1C_EEEEEEEEENS0_9LoopTypesINSR_IJvvEEES1O_EEEEEEvT0_ ; -- Begin function _ZN4RAJA8internal22HipKernelLauncherFixedILi256ENS0_8LoopDataIN4camp5tupleIJNS_4SpanINS_9Iterators16numeric_iteratorIllPlEElEESA_EEENS4_IJdEEENS3_9resources2v13HipEJZN8rajaperf9polybench16POLYBENCH_GEMVER17runHipVariantImplILm256EEEvNSG_9VariantIDEEUllRdE_ZNSJ_ILm256EEEvSK_EUlllSL_E_ZNSJ_ILm256EEEvSK_EUllSL_E0_EEENS0_24HipStatementListExecutorISP_NS3_4listIJNS_9statement3ForILl0ENS_6policy3hip11hip_indexerINS_17iteration_mapping6DirectELNS_23kernel_sync_requirementE0EJNS_3hip11IndexGlobalILNS_9named_dimE0ELi256ELi0EEEEEEJNSS_6LambdaILl0EJNSR_IJNS0_9LambdaArgINS0_16lambda_arg_seg_tELl0EEEEEENSR_IJNS16_INS0_18lambda_arg_param_tELl0EEEEEEEEENST_ILl1ENSU_10sequential8seq_execEJNS15_ILl1EJNSR_IJS18_NS16_IS17_Ll1EEEEEES1C_EEEEEENS15_ILl2EJS19_S1C_EEEEEEEEENS0_9LoopTypesINSR_IJvvEEES1O_EEEEEEvT0_
	.globl	_ZN4RAJA8internal22HipKernelLauncherFixedILi256ENS0_8LoopDataIN4camp5tupleIJNS_4SpanINS_9Iterators16numeric_iteratorIllPlEElEESA_EEENS4_IJdEEENS3_9resources2v13HipEJZN8rajaperf9polybench16POLYBENCH_GEMVER17runHipVariantImplILm256EEEvNSG_9VariantIDEEUllRdE_ZNSJ_ILm256EEEvSK_EUlllSL_E_ZNSJ_ILm256EEEvSK_EUllSL_E0_EEENS0_24HipStatementListExecutorISP_NS3_4listIJNS_9statement3ForILl0ENS_6policy3hip11hip_indexerINS_17iteration_mapping6DirectELNS_23kernel_sync_requirementE0EJNS_3hip11IndexGlobalILNS_9named_dimE0ELi256ELi0EEEEEEJNSS_6LambdaILl0EJNSR_IJNS0_9LambdaArgINS0_16lambda_arg_seg_tELl0EEEEEENSR_IJNS16_INS0_18lambda_arg_param_tELl0EEEEEEEEENST_ILl1ENSU_10sequential8seq_execEJNS15_ILl1EJNSR_IJS18_NS16_IS17_Ll1EEEEEES1C_EEEEEENS15_ILl2EJS19_S1C_EEEEEEEEENS0_9LoopTypesINSR_IJvvEEES1O_EEEEEEvT0_
	.p2align	8
	.type	_ZN4RAJA8internal22HipKernelLauncherFixedILi256ENS0_8LoopDataIN4camp5tupleIJNS_4SpanINS_9Iterators16numeric_iteratorIllPlEElEESA_EEENS4_IJdEEENS3_9resources2v13HipEJZN8rajaperf9polybench16POLYBENCH_GEMVER17runHipVariantImplILm256EEEvNSG_9VariantIDEEUllRdE_ZNSJ_ILm256EEEvSK_EUlllSL_E_ZNSJ_ILm256EEEvSK_EUllSL_E0_EEENS0_24HipStatementListExecutorISP_NS3_4listIJNS_9statement3ForILl0ENS_6policy3hip11hip_indexerINS_17iteration_mapping6DirectELNS_23kernel_sync_requirementE0EJNS_3hip11IndexGlobalILNS_9named_dimE0ELi256ELi0EEEEEEJNSS_6LambdaILl0EJNSR_IJNS0_9LambdaArgINS0_16lambda_arg_seg_tELl0EEEEEENSR_IJNS16_INS0_18lambda_arg_param_tELl0EEEEEEEEENST_ILl1ENSU_10sequential8seq_execEJNS15_ILl1EJNSR_IJS18_NS16_IS17_Ll1EEEEEES1C_EEEEEENS15_ILl2EJS19_S1C_EEEEEEEEENS0_9LoopTypesINSR_IJvvEEES1O_EEEEEEvT0_,@function
_ZN4RAJA8internal22HipKernelLauncherFixedILi256ENS0_8LoopDataIN4camp5tupleIJNS_4SpanINS_9Iterators16numeric_iteratorIllPlEElEESA_EEENS4_IJdEEENS3_9resources2v13HipEJZN8rajaperf9polybench16POLYBENCH_GEMVER17runHipVariantImplILm256EEEvNSG_9VariantIDEEUllRdE_ZNSJ_ILm256EEEvSK_EUlllSL_E_ZNSJ_ILm256EEEvSK_EUllSL_E0_EEENS0_24HipStatementListExecutorISP_NS3_4listIJNS_9statement3ForILl0ENS_6policy3hip11hip_indexerINS_17iteration_mapping6DirectELNS_23kernel_sync_requirementE0EJNS_3hip11IndexGlobalILNS_9named_dimE0ELi256ELi0EEEEEEJNSS_6LambdaILl0EJNSR_IJNS0_9LambdaArgINS0_16lambda_arg_seg_tELl0EEEEEENSR_IJNS16_INS0_18lambda_arg_param_tELl0EEEEEEEEENST_ILl1ENSU_10sequential8seq_execEJNS15_ILl1EJNSR_IJS18_NS16_IS17_Ll1EEEEEES1C_EEEEEENS15_ILl2EJS19_S1C_EEEEEEEEENS0_9LoopTypesINSR_IJvvEEES1O_EEEEEEvT0_: ; @_ZN4RAJA8internal22HipKernelLauncherFixedILi256ENS0_8LoopDataIN4camp5tupleIJNS_4SpanINS_9Iterators16numeric_iteratorIllPlEElEESA_EEENS4_IJdEEENS3_9resources2v13HipEJZN8rajaperf9polybench16POLYBENCH_GEMVER17runHipVariantImplILm256EEEvNSG_9VariantIDEEUllRdE_ZNSJ_ILm256EEEvSK_EUlllSL_E_ZNSJ_ILm256EEEvSK_EUllSL_E0_EEENS0_24HipStatementListExecutorISP_NS3_4listIJNS_9statement3ForILl0ENS_6policy3hip11hip_indexerINS_17iteration_mapping6DirectELNS_23kernel_sync_requirementE0EJNS_3hip11IndexGlobalILNS_9named_dimE0ELi256ELi0EEEEEEJNSS_6LambdaILl0EJNSR_IJNS0_9LambdaArgINS0_16lambda_arg_seg_tELl0EEEEEENSR_IJNS16_INS0_18lambda_arg_param_tELl0EEEEEEEEENST_ILl1ENSU_10sequential8seq_execEJNS15_ILl1EJNSR_IJS18_NS16_IS17_Ll1EEEEEES1C_EEEEEENS15_ILl2EJS19_S1C_EEEEEEEEENS0_9LoopTypesINSR_IJvvEEES1O_EEEEEEvT0_
; %bb.0:
	s_load_b256 s[4:11], s[0:1], 0x0
	s_bfe_u32 s2, ttmp6, 0x4000c
	s_and_b32 s3, ttmp6, 15
	s_add_co_i32 s2, s2, 1
	s_getreg_b32 s14, hwreg(HW_REG_IB_STS2, 6, 4)
	s_mul_i32 s2, ttmp9, s2
	s_load_b64 s[12:13], s[0:1], 0x20
	s_add_co_i32 s3, s3, s2
	s_cmp_eq_u32 s14, 0
	s_mov_b32 s17, 0
	s_cselect_b32 s16, ttmp9, s3
	s_delay_alu instid0(SALU_CYCLE_1) | instskip(NEXT) | instid1(SALU_CYCLE_1)
	s_lshl_b64 s[2:3], s[16:17], 8
	v_dual_mov_b32 v3, s3 :: v_dual_bitop2_b32 v2, s2, v0 bitop3:0x54
	s_wait_kmcnt 0x0
	s_sub_nc_u64 s[2:3], s[6:7], s[4:5]
	s_sub_nc_u64 s[6:7], s[10:11], s[8:9]
	s_delay_alu instid0(VALU_DEP_1) | instskip(SKIP_1) | instid1(VALU_DEP_2)
	v_cmp_gt_i64_e64 s2, s[2:3], v[2:3]
	v_cmp_lt_i64_e64 s3, s[6:7], 1
	v_cndmask_b32_e64 v5, s13, 0, s2
	v_cndmask_b32_e64 v4, s12, 0, s2
	s_and_b32 vcc_lo, exec_lo, s3
	s_cbranch_vccnz .LBB9_5
; %bb.1:
	s_clause 0x2
	s_load_b64 s[10:11], s[0:1], 0x58
	s_load_b128 s[12:15], s[0:1], 0x38
	s_load_b64 s[18:19], s[0:1], 0x88
	s_lshl_b64 s[16:17], s[16:17], 11
	v_dual_mov_b32 v1, 0 :: v_dual_lshlrev_b32 v0, 3, v0
	s_wait_kmcnt 0x0
	s_mul_u64 s[20:21], s[8:9], s[10:11]
	s_lshl_b64 s[8:9], s[8:9], 3
	s_lshl_b64 s[20:21], s[20:21], 3
	s_add_nc_u64 s[8:9], s[18:19], s[8:9]
	s_add_nc_u64 s[16:17], s[20:21], s[16:17]
	s_lshl_b64 s[20:21], s[4:5], 3
	s_lshl_b64 s[10:11], s[10:11], 3
	s_add_nc_u64 s[16:17], s[16:17], s[20:21]
	s_delay_alu instid0(SALU_CYCLE_1) | instskip(NEXT) | instid1(SALU_CYCLE_1)
	s_add_nc_u64 s[14:15], s[14:15], s[16:17]
	v_add_nc_u64_e32 v[0:1], s[14:15], v[0:1]
	s_mov_b64 s[14:15], 0
	s_branch .LBB9_3
.LBB9_2:                                ;   in Loop: Header=BB9_3 Depth=1
	s_or_b32 exec_lo, exec_lo, s3
	s_add_nc_u64 s[14:15], s[14:15], 1
	v_add_nc_u64_e32 v[0:1], s[10:11], v[0:1]
	v_cmp_lt_i64_e64 s3, s[14:15], s[6:7]
	s_add_nc_u64 s[8:9], s[8:9], 8
	s_and_b32 vcc_lo, exec_lo, s3
	s_cbranch_vccz .LBB9_5
.LBB9_3:                                ; =>This Inner Loop Header: Depth=1
	s_and_saveexec_b32 s3, s2
	s_cbranch_execz .LBB9_2
; %bb.4:                                ;   in Loop: Header=BB9_3 Depth=1
	global_load_b64 v[6:7], v[0:1], off
	s_load_b64 s[16:17], s[8:9], 0x0
	s_wait_loadcnt 0x0
	v_mul_f64_e32 v[6:7], s[12:13], v[6:7]
	s_wait_kmcnt 0x0
	s_delay_alu instid0(VALU_DEP_1)
	v_fmac_f64_e32 v[4:5], s[16:17], v[6:7]
	s_branch .LBB9_2
.LBB9_5:
	s_load_b64 s[0:1], s[0:1], 0xb0
	s_and_saveexec_b32 s3, s2
	s_cbranch_execz .LBB9_7
; %bb.6:
	s_wait_kmcnt 0x0
	v_lshl_add_u64 v[0:1], v[2:3], 3, s[0:1]
	s_delay_alu instid0(VALU_DEP_1)
	v_lshl_add_u64 v[0:1], s[4:5], 3, v[0:1]
	global_store_b64 v[0:1], v[4:5], off
.LBB9_7:
	s_endpgm
	.section	.rodata,"a",@progbits
	.p2align	6, 0x0
	.amdhsa_kernel _ZN4RAJA8internal22HipKernelLauncherFixedILi256ENS0_8LoopDataIN4camp5tupleIJNS_4SpanINS_9Iterators16numeric_iteratorIllPlEElEESA_EEENS4_IJdEEENS3_9resources2v13HipEJZN8rajaperf9polybench16POLYBENCH_GEMVER17runHipVariantImplILm256EEEvNSG_9VariantIDEEUllRdE_ZNSJ_ILm256EEEvSK_EUlllSL_E_ZNSJ_ILm256EEEvSK_EUllSL_E0_EEENS0_24HipStatementListExecutorISP_NS3_4listIJNS_9statement3ForILl0ENS_6policy3hip11hip_indexerINS_17iteration_mapping6DirectELNS_23kernel_sync_requirementE0EJNS_3hip11IndexGlobalILNS_9named_dimE0ELi256ELi0EEEEEEJNSS_6LambdaILl0EJNSR_IJNS0_9LambdaArgINS0_16lambda_arg_seg_tELl0EEEEEENSR_IJNS16_INS0_18lambda_arg_param_tELl0EEEEEEEEENST_ILl1ENSU_10sequential8seq_execEJNS15_ILl1EJNSR_IJS18_NS16_IS17_Ll1EEEEEES1C_EEEEEENS15_ILl2EJS19_S1C_EEEEEEEEENS0_9LoopTypesINSR_IJvvEEES1O_EEEEEEvT0_
		.amdhsa_group_segment_fixed_size 0
		.amdhsa_private_segment_fixed_size 0
		.amdhsa_kernarg_size 240
		.amdhsa_user_sgpr_count 2
		.amdhsa_user_sgpr_dispatch_ptr 0
		.amdhsa_user_sgpr_queue_ptr 0
		.amdhsa_user_sgpr_kernarg_segment_ptr 1
		.amdhsa_user_sgpr_dispatch_id 0
		.amdhsa_user_sgpr_kernarg_preload_length 0
		.amdhsa_user_sgpr_kernarg_preload_offset 0
		.amdhsa_user_sgpr_private_segment_size 0
		.amdhsa_wavefront_size32 1
		.amdhsa_uses_dynamic_stack 0
		.amdhsa_enable_private_segment 0
		.amdhsa_system_sgpr_workgroup_id_x 1
		.amdhsa_system_sgpr_workgroup_id_y 0
		.amdhsa_system_sgpr_workgroup_id_z 0
		.amdhsa_system_sgpr_workgroup_info 0
		.amdhsa_system_vgpr_workitem_id 0
		.amdhsa_next_free_vgpr 8
		.amdhsa_next_free_sgpr 22
		.amdhsa_named_barrier_count 0
		.amdhsa_reserve_vcc 1
		.amdhsa_float_round_mode_32 0
		.amdhsa_float_round_mode_16_64 0
		.amdhsa_float_denorm_mode_32 3
		.amdhsa_float_denorm_mode_16_64 3
		.amdhsa_fp16_overflow 0
		.amdhsa_memory_ordered 1
		.amdhsa_forward_progress 1
		.amdhsa_inst_pref_size 3
		.amdhsa_round_robin_scheduling 0
		.amdhsa_exception_fp_ieee_invalid_op 0
		.amdhsa_exception_fp_denorm_src 0
		.amdhsa_exception_fp_ieee_div_zero 0
		.amdhsa_exception_fp_ieee_overflow 0
		.amdhsa_exception_fp_ieee_underflow 0
		.amdhsa_exception_fp_ieee_inexact 0
		.amdhsa_exception_int_div_zero 0
	.end_amdhsa_kernel
	.section	.text._ZN4RAJA8internal22HipKernelLauncherFixedILi256ENS0_8LoopDataIN4camp5tupleIJNS_4SpanINS_9Iterators16numeric_iteratorIllPlEElEESA_EEENS4_IJdEEENS3_9resources2v13HipEJZN8rajaperf9polybench16POLYBENCH_GEMVER17runHipVariantImplILm256EEEvNSG_9VariantIDEEUllRdE_ZNSJ_ILm256EEEvSK_EUlllSL_E_ZNSJ_ILm256EEEvSK_EUllSL_E0_EEENS0_24HipStatementListExecutorISP_NS3_4listIJNS_9statement3ForILl0ENS_6policy3hip11hip_indexerINS_17iteration_mapping6DirectELNS_23kernel_sync_requirementE0EJNS_3hip11IndexGlobalILNS_9named_dimE0ELi256ELi0EEEEEEJNSS_6LambdaILl0EJNSR_IJNS0_9LambdaArgINS0_16lambda_arg_seg_tELl0EEEEEENSR_IJNS16_INS0_18lambda_arg_param_tELl0EEEEEEEEENST_ILl1ENSU_10sequential8seq_execEJNS15_ILl1EJNSR_IJS18_NS16_IS17_Ll1EEEEEES1C_EEEEEENS15_ILl2EJS19_S1C_EEEEEEEEENS0_9LoopTypesINSR_IJvvEEES1O_EEEEEEvT0_,"axG",@progbits,_ZN4RAJA8internal22HipKernelLauncherFixedILi256ENS0_8LoopDataIN4camp5tupleIJNS_4SpanINS_9Iterators16numeric_iteratorIllPlEElEESA_EEENS4_IJdEEENS3_9resources2v13HipEJZN8rajaperf9polybench16POLYBENCH_GEMVER17runHipVariantImplILm256EEEvNSG_9VariantIDEEUllRdE_ZNSJ_ILm256EEEvSK_EUlllSL_E_ZNSJ_ILm256EEEvSK_EUllSL_E0_EEENS0_24HipStatementListExecutorISP_NS3_4listIJNS_9statement3ForILl0ENS_6policy3hip11hip_indexerINS_17iteration_mapping6DirectELNS_23kernel_sync_requirementE0EJNS_3hip11IndexGlobalILNS_9named_dimE0ELi256ELi0EEEEEEJNSS_6LambdaILl0EJNSR_IJNS0_9LambdaArgINS0_16lambda_arg_seg_tELl0EEEEEENSR_IJNS16_INS0_18lambda_arg_param_tELl0EEEEEEEEENST_ILl1ENSU_10sequential8seq_execEJNS15_ILl1EJNSR_IJS18_NS16_IS17_Ll1EEEEEES1C_EEEEEENS15_ILl2EJS19_S1C_EEEEEEEEENS0_9LoopTypesINSR_IJvvEEES1O_EEEEEEvT0_,comdat
.Lfunc_end9:
	.size	_ZN4RAJA8internal22HipKernelLauncherFixedILi256ENS0_8LoopDataIN4camp5tupleIJNS_4SpanINS_9Iterators16numeric_iteratorIllPlEElEESA_EEENS4_IJdEEENS3_9resources2v13HipEJZN8rajaperf9polybench16POLYBENCH_GEMVER17runHipVariantImplILm256EEEvNSG_9VariantIDEEUllRdE_ZNSJ_ILm256EEEvSK_EUlllSL_E_ZNSJ_ILm256EEEvSK_EUllSL_E0_EEENS0_24HipStatementListExecutorISP_NS3_4listIJNS_9statement3ForILl0ENS_6policy3hip11hip_indexerINS_17iteration_mapping6DirectELNS_23kernel_sync_requirementE0EJNS_3hip11IndexGlobalILNS_9named_dimE0ELi256ELi0EEEEEEJNSS_6LambdaILl0EJNSR_IJNS0_9LambdaArgINS0_16lambda_arg_seg_tELl0EEEEEENSR_IJNS16_INS0_18lambda_arg_param_tELl0EEEEEEEEENST_ILl1ENSU_10sequential8seq_execEJNS15_ILl1EJNSR_IJS18_NS16_IS17_Ll1EEEEEES1C_EEEEEENS15_ILl2EJS19_S1C_EEEEEEEEENS0_9LoopTypesINSR_IJvvEEES1O_EEEEEEvT0_, .Lfunc_end9-_ZN4RAJA8internal22HipKernelLauncherFixedILi256ENS0_8LoopDataIN4camp5tupleIJNS_4SpanINS_9Iterators16numeric_iteratorIllPlEElEESA_EEENS4_IJdEEENS3_9resources2v13HipEJZN8rajaperf9polybench16POLYBENCH_GEMVER17runHipVariantImplILm256EEEvNSG_9VariantIDEEUllRdE_ZNSJ_ILm256EEEvSK_EUlllSL_E_ZNSJ_ILm256EEEvSK_EUllSL_E0_EEENS0_24HipStatementListExecutorISP_NS3_4listIJNS_9statement3ForILl0ENS_6policy3hip11hip_indexerINS_17iteration_mapping6DirectELNS_23kernel_sync_requirementE0EJNS_3hip11IndexGlobalILNS_9named_dimE0ELi256ELi0EEEEEEJNSS_6LambdaILl0EJNSR_IJNS0_9LambdaArgINS0_16lambda_arg_seg_tELl0EEEEEENSR_IJNS16_INS0_18lambda_arg_param_tELl0EEEEEEEEENST_ILl1ENSU_10sequential8seq_execEJNS15_ILl1EJNSR_IJS18_NS16_IS17_Ll1EEEEEES1C_EEEEEENS15_ILl2EJS19_S1C_EEEEEEEEENS0_9LoopTypesINSR_IJvvEEES1O_EEEEEEvT0_
                                        ; -- End function
	.set _ZN4RAJA8internal22HipKernelLauncherFixedILi256ENS0_8LoopDataIN4camp5tupleIJNS_4SpanINS_9Iterators16numeric_iteratorIllPlEElEESA_EEENS4_IJdEEENS3_9resources2v13HipEJZN8rajaperf9polybench16POLYBENCH_GEMVER17runHipVariantImplILm256EEEvNSG_9VariantIDEEUllRdE_ZNSJ_ILm256EEEvSK_EUlllSL_E_ZNSJ_ILm256EEEvSK_EUllSL_E0_EEENS0_24HipStatementListExecutorISP_NS3_4listIJNS_9statement3ForILl0ENS_6policy3hip11hip_indexerINS_17iteration_mapping6DirectELNS_23kernel_sync_requirementE0EJNS_3hip11IndexGlobalILNS_9named_dimE0ELi256ELi0EEEEEEJNSS_6LambdaILl0EJNSR_IJNS0_9LambdaArgINS0_16lambda_arg_seg_tELl0EEEEEENSR_IJNS16_INS0_18lambda_arg_param_tELl0EEEEEEEEENST_ILl1ENSU_10sequential8seq_execEJNS15_ILl1EJNSR_IJS18_NS16_IS17_Ll1EEEEEES1C_EEEEEENS15_ILl2EJS19_S1C_EEEEEEEEENS0_9LoopTypesINSR_IJvvEEES1O_EEEEEEvT0_.num_vgpr, 8
	.set _ZN4RAJA8internal22HipKernelLauncherFixedILi256ENS0_8LoopDataIN4camp5tupleIJNS_4SpanINS_9Iterators16numeric_iteratorIllPlEElEESA_EEENS4_IJdEEENS3_9resources2v13HipEJZN8rajaperf9polybench16POLYBENCH_GEMVER17runHipVariantImplILm256EEEvNSG_9VariantIDEEUllRdE_ZNSJ_ILm256EEEvSK_EUlllSL_E_ZNSJ_ILm256EEEvSK_EUllSL_E0_EEENS0_24HipStatementListExecutorISP_NS3_4listIJNS_9statement3ForILl0ENS_6policy3hip11hip_indexerINS_17iteration_mapping6DirectELNS_23kernel_sync_requirementE0EJNS_3hip11IndexGlobalILNS_9named_dimE0ELi256ELi0EEEEEEJNSS_6LambdaILl0EJNSR_IJNS0_9LambdaArgINS0_16lambda_arg_seg_tELl0EEEEEENSR_IJNS16_INS0_18lambda_arg_param_tELl0EEEEEEEEENST_ILl1ENSU_10sequential8seq_execEJNS15_ILl1EJNSR_IJS18_NS16_IS17_Ll1EEEEEES1C_EEEEEENS15_ILl2EJS19_S1C_EEEEEEEEENS0_9LoopTypesINSR_IJvvEEES1O_EEEEEEvT0_.num_agpr, 0
	.set _ZN4RAJA8internal22HipKernelLauncherFixedILi256ENS0_8LoopDataIN4camp5tupleIJNS_4SpanINS_9Iterators16numeric_iteratorIllPlEElEESA_EEENS4_IJdEEENS3_9resources2v13HipEJZN8rajaperf9polybench16POLYBENCH_GEMVER17runHipVariantImplILm256EEEvNSG_9VariantIDEEUllRdE_ZNSJ_ILm256EEEvSK_EUlllSL_E_ZNSJ_ILm256EEEvSK_EUllSL_E0_EEENS0_24HipStatementListExecutorISP_NS3_4listIJNS_9statement3ForILl0ENS_6policy3hip11hip_indexerINS_17iteration_mapping6DirectELNS_23kernel_sync_requirementE0EJNS_3hip11IndexGlobalILNS_9named_dimE0ELi256ELi0EEEEEEJNSS_6LambdaILl0EJNSR_IJNS0_9LambdaArgINS0_16lambda_arg_seg_tELl0EEEEEENSR_IJNS16_INS0_18lambda_arg_param_tELl0EEEEEEEEENST_ILl1ENSU_10sequential8seq_execEJNS15_ILl1EJNSR_IJS18_NS16_IS17_Ll1EEEEEES1C_EEEEEENS15_ILl2EJS19_S1C_EEEEEEEEENS0_9LoopTypesINSR_IJvvEEES1O_EEEEEEvT0_.numbered_sgpr, 22
	.set _ZN4RAJA8internal22HipKernelLauncherFixedILi256ENS0_8LoopDataIN4camp5tupleIJNS_4SpanINS_9Iterators16numeric_iteratorIllPlEElEESA_EEENS4_IJdEEENS3_9resources2v13HipEJZN8rajaperf9polybench16POLYBENCH_GEMVER17runHipVariantImplILm256EEEvNSG_9VariantIDEEUllRdE_ZNSJ_ILm256EEEvSK_EUlllSL_E_ZNSJ_ILm256EEEvSK_EUllSL_E0_EEENS0_24HipStatementListExecutorISP_NS3_4listIJNS_9statement3ForILl0ENS_6policy3hip11hip_indexerINS_17iteration_mapping6DirectELNS_23kernel_sync_requirementE0EJNS_3hip11IndexGlobalILNS_9named_dimE0ELi256ELi0EEEEEEJNSS_6LambdaILl0EJNSR_IJNS0_9LambdaArgINS0_16lambda_arg_seg_tELl0EEEEEENSR_IJNS16_INS0_18lambda_arg_param_tELl0EEEEEEEEENST_ILl1ENSU_10sequential8seq_execEJNS15_ILl1EJNSR_IJS18_NS16_IS17_Ll1EEEEEES1C_EEEEEENS15_ILl2EJS19_S1C_EEEEEEEEENS0_9LoopTypesINSR_IJvvEEES1O_EEEEEEvT0_.num_named_barrier, 0
	.set _ZN4RAJA8internal22HipKernelLauncherFixedILi256ENS0_8LoopDataIN4camp5tupleIJNS_4SpanINS_9Iterators16numeric_iteratorIllPlEElEESA_EEENS4_IJdEEENS3_9resources2v13HipEJZN8rajaperf9polybench16POLYBENCH_GEMVER17runHipVariantImplILm256EEEvNSG_9VariantIDEEUllRdE_ZNSJ_ILm256EEEvSK_EUlllSL_E_ZNSJ_ILm256EEEvSK_EUllSL_E0_EEENS0_24HipStatementListExecutorISP_NS3_4listIJNS_9statement3ForILl0ENS_6policy3hip11hip_indexerINS_17iteration_mapping6DirectELNS_23kernel_sync_requirementE0EJNS_3hip11IndexGlobalILNS_9named_dimE0ELi256ELi0EEEEEEJNSS_6LambdaILl0EJNSR_IJNS0_9LambdaArgINS0_16lambda_arg_seg_tELl0EEEEEENSR_IJNS16_INS0_18lambda_arg_param_tELl0EEEEEEEEENST_ILl1ENSU_10sequential8seq_execEJNS15_ILl1EJNSR_IJS18_NS16_IS17_Ll1EEEEEES1C_EEEEEENS15_ILl2EJS19_S1C_EEEEEEEEENS0_9LoopTypesINSR_IJvvEEES1O_EEEEEEvT0_.private_seg_size, 0
	.set _ZN4RAJA8internal22HipKernelLauncherFixedILi256ENS0_8LoopDataIN4camp5tupleIJNS_4SpanINS_9Iterators16numeric_iteratorIllPlEElEESA_EEENS4_IJdEEENS3_9resources2v13HipEJZN8rajaperf9polybench16POLYBENCH_GEMVER17runHipVariantImplILm256EEEvNSG_9VariantIDEEUllRdE_ZNSJ_ILm256EEEvSK_EUlllSL_E_ZNSJ_ILm256EEEvSK_EUllSL_E0_EEENS0_24HipStatementListExecutorISP_NS3_4listIJNS_9statement3ForILl0ENS_6policy3hip11hip_indexerINS_17iteration_mapping6DirectELNS_23kernel_sync_requirementE0EJNS_3hip11IndexGlobalILNS_9named_dimE0ELi256ELi0EEEEEEJNSS_6LambdaILl0EJNSR_IJNS0_9LambdaArgINS0_16lambda_arg_seg_tELl0EEEEEENSR_IJNS16_INS0_18lambda_arg_param_tELl0EEEEEEEEENST_ILl1ENSU_10sequential8seq_execEJNS15_ILl1EJNSR_IJS18_NS16_IS17_Ll1EEEEEES1C_EEEEEENS15_ILl2EJS19_S1C_EEEEEEEEENS0_9LoopTypesINSR_IJvvEEES1O_EEEEEEvT0_.uses_vcc, 1
	.set _ZN4RAJA8internal22HipKernelLauncherFixedILi256ENS0_8LoopDataIN4camp5tupleIJNS_4SpanINS_9Iterators16numeric_iteratorIllPlEElEESA_EEENS4_IJdEEENS3_9resources2v13HipEJZN8rajaperf9polybench16POLYBENCH_GEMVER17runHipVariantImplILm256EEEvNSG_9VariantIDEEUllRdE_ZNSJ_ILm256EEEvSK_EUlllSL_E_ZNSJ_ILm256EEEvSK_EUllSL_E0_EEENS0_24HipStatementListExecutorISP_NS3_4listIJNS_9statement3ForILl0ENS_6policy3hip11hip_indexerINS_17iteration_mapping6DirectELNS_23kernel_sync_requirementE0EJNS_3hip11IndexGlobalILNS_9named_dimE0ELi256ELi0EEEEEEJNSS_6LambdaILl0EJNSR_IJNS0_9LambdaArgINS0_16lambda_arg_seg_tELl0EEEEEENSR_IJNS16_INS0_18lambda_arg_param_tELl0EEEEEEEEENST_ILl1ENSU_10sequential8seq_execEJNS15_ILl1EJNSR_IJS18_NS16_IS17_Ll1EEEEEES1C_EEEEEENS15_ILl2EJS19_S1C_EEEEEEEEENS0_9LoopTypesINSR_IJvvEEES1O_EEEEEEvT0_.uses_flat_scratch, 0
	.set _ZN4RAJA8internal22HipKernelLauncherFixedILi256ENS0_8LoopDataIN4camp5tupleIJNS_4SpanINS_9Iterators16numeric_iteratorIllPlEElEESA_EEENS4_IJdEEENS3_9resources2v13HipEJZN8rajaperf9polybench16POLYBENCH_GEMVER17runHipVariantImplILm256EEEvNSG_9VariantIDEEUllRdE_ZNSJ_ILm256EEEvSK_EUlllSL_E_ZNSJ_ILm256EEEvSK_EUllSL_E0_EEENS0_24HipStatementListExecutorISP_NS3_4listIJNS_9statement3ForILl0ENS_6policy3hip11hip_indexerINS_17iteration_mapping6DirectELNS_23kernel_sync_requirementE0EJNS_3hip11IndexGlobalILNS_9named_dimE0ELi256ELi0EEEEEEJNSS_6LambdaILl0EJNSR_IJNS0_9LambdaArgINS0_16lambda_arg_seg_tELl0EEEEEENSR_IJNS16_INS0_18lambda_arg_param_tELl0EEEEEEEEENST_ILl1ENSU_10sequential8seq_execEJNS15_ILl1EJNSR_IJS18_NS16_IS17_Ll1EEEEEES1C_EEEEEENS15_ILl2EJS19_S1C_EEEEEEEEENS0_9LoopTypesINSR_IJvvEEES1O_EEEEEEvT0_.has_dyn_sized_stack, 0
	.set _ZN4RAJA8internal22HipKernelLauncherFixedILi256ENS0_8LoopDataIN4camp5tupleIJNS_4SpanINS_9Iterators16numeric_iteratorIllPlEElEESA_EEENS4_IJdEEENS3_9resources2v13HipEJZN8rajaperf9polybench16POLYBENCH_GEMVER17runHipVariantImplILm256EEEvNSG_9VariantIDEEUllRdE_ZNSJ_ILm256EEEvSK_EUlllSL_E_ZNSJ_ILm256EEEvSK_EUllSL_E0_EEENS0_24HipStatementListExecutorISP_NS3_4listIJNS_9statement3ForILl0ENS_6policy3hip11hip_indexerINS_17iteration_mapping6DirectELNS_23kernel_sync_requirementE0EJNS_3hip11IndexGlobalILNS_9named_dimE0ELi256ELi0EEEEEEJNSS_6LambdaILl0EJNSR_IJNS0_9LambdaArgINS0_16lambda_arg_seg_tELl0EEEEEENSR_IJNS16_INS0_18lambda_arg_param_tELl0EEEEEEEEENST_ILl1ENSU_10sequential8seq_execEJNS15_ILl1EJNSR_IJS18_NS16_IS17_Ll1EEEEEES1C_EEEEEENS15_ILl2EJS19_S1C_EEEEEEEEENS0_9LoopTypesINSR_IJvvEEES1O_EEEEEEvT0_.has_recursion, 0
	.set _ZN4RAJA8internal22HipKernelLauncherFixedILi256ENS0_8LoopDataIN4camp5tupleIJNS_4SpanINS_9Iterators16numeric_iteratorIllPlEElEESA_EEENS4_IJdEEENS3_9resources2v13HipEJZN8rajaperf9polybench16POLYBENCH_GEMVER17runHipVariantImplILm256EEEvNSG_9VariantIDEEUllRdE_ZNSJ_ILm256EEEvSK_EUlllSL_E_ZNSJ_ILm256EEEvSK_EUllSL_E0_EEENS0_24HipStatementListExecutorISP_NS3_4listIJNS_9statement3ForILl0ENS_6policy3hip11hip_indexerINS_17iteration_mapping6DirectELNS_23kernel_sync_requirementE0EJNS_3hip11IndexGlobalILNS_9named_dimE0ELi256ELi0EEEEEEJNSS_6LambdaILl0EJNSR_IJNS0_9LambdaArgINS0_16lambda_arg_seg_tELl0EEEEEENSR_IJNS16_INS0_18lambda_arg_param_tELl0EEEEEEEEENST_ILl1ENSU_10sequential8seq_execEJNS15_ILl1EJNSR_IJS18_NS16_IS17_Ll1EEEEEES1C_EEEEEENS15_ILl2EJS19_S1C_EEEEEEEEENS0_9LoopTypesINSR_IJvvEEES1O_EEEEEEvT0_.has_indirect_call, 0
	.section	.AMDGPU.csdata,"",@progbits
; Kernel info:
; codeLenInByte = 368
; TotalNumSgprs: 24
; NumVgprs: 8
; ScratchSize: 0
; MemoryBound: 1
; FloatMode: 240
; IeeeMode: 1
; LDSByteSize: 0 bytes/workgroup (compile time only)
; SGPRBlocks: 0
; VGPRBlocks: 0
; NumSGPRsForWavesPerEU: 24
; NumVGPRsForWavesPerEU: 8
; NamedBarCnt: 0
; Occupancy: 16
; WaveLimiterHint : 0
; COMPUTE_PGM_RSRC2:SCRATCH_EN: 0
; COMPUTE_PGM_RSRC2:USER_SGPR: 2
; COMPUTE_PGM_RSRC2:TRAP_HANDLER: 0
; COMPUTE_PGM_RSRC2:TGID_X_EN: 1
; COMPUTE_PGM_RSRC2:TGID_Y_EN: 0
; COMPUTE_PGM_RSRC2:TGID_Z_EN: 0
; COMPUTE_PGM_RSRC2:TIDIG_COMP_CNT: 0
	.section	.text._ZN4RAJA6policy3hip4impl18forallp_hip_kernelINS1_8hip_execINS_17iteration_mapping6DirectENS_3hip11IndexGlobalILNS_9named_dimE0ELi256ELi0EEENS7_40AvoidDeviceMaxThreadOccupancyConcretizerINS7_34FractionOffsetOccupancyConcretizerINS_8FractionImLm1ELm1EEELln1EEEEELb1EEENS_9Iterators16numeric_iteratorIllPlEEZN8rajaperf9polybench16POLYBENCH_GEMVER17runHipVariantImplILm256EEEvNSM_9VariantIDEEUllE2_lNS_4expt15ForallParamPackIJEEES6_SA_TnNSt9enable_ifIXaasr3std10is_base_ofINS5_10DirectBaseET4_EE5valuegtsrT5_10block_sizeLi0EEmE4typeELm256EEEvT1_T0_T2_T3_,"axG",@progbits,_ZN4RAJA6policy3hip4impl18forallp_hip_kernelINS1_8hip_execINS_17iteration_mapping6DirectENS_3hip11IndexGlobalILNS_9named_dimE0ELi256ELi0EEENS7_40AvoidDeviceMaxThreadOccupancyConcretizerINS7_34FractionOffsetOccupancyConcretizerINS_8FractionImLm1ELm1EEELln1EEEEELb1EEENS_9Iterators16numeric_iteratorIllPlEEZN8rajaperf9polybench16POLYBENCH_GEMVER17runHipVariantImplILm256EEEvNSM_9VariantIDEEUllE2_lNS_4expt15ForallParamPackIJEEES6_SA_TnNSt9enable_ifIXaasr3std10is_base_ofINS5_10DirectBaseET4_EE5valuegtsrT5_10block_sizeLi0EEmE4typeELm256EEEvT1_T0_T2_T3_,comdat
	.protected	_ZN4RAJA6policy3hip4impl18forallp_hip_kernelINS1_8hip_execINS_17iteration_mapping6DirectENS_3hip11IndexGlobalILNS_9named_dimE0ELi256ELi0EEENS7_40AvoidDeviceMaxThreadOccupancyConcretizerINS7_34FractionOffsetOccupancyConcretizerINS_8FractionImLm1ELm1EEELln1EEEEELb1EEENS_9Iterators16numeric_iteratorIllPlEEZN8rajaperf9polybench16POLYBENCH_GEMVER17runHipVariantImplILm256EEEvNSM_9VariantIDEEUllE2_lNS_4expt15ForallParamPackIJEEES6_SA_TnNSt9enable_ifIXaasr3std10is_base_ofINS5_10DirectBaseET4_EE5valuegtsrT5_10block_sizeLi0EEmE4typeELm256EEEvT1_T0_T2_T3_ ; -- Begin function _ZN4RAJA6policy3hip4impl18forallp_hip_kernelINS1_8hip_execINS_17iteration_mapping6DirectENS_3hip11IndexGlobalILNS_9named_dimE0ELi256ELi0EEENS7_40AvoidDeviceMaxThreadOccupancyConcretizerINS7_34FractionOffsetOccupancyConcretizerINS_8FractionImLm1ELm1EEELln1EEEEELb1EEENS_9Iterators16numeric_iteratorIllPlEEZN8rajaperf9polybench16POLYBENCH_GEMVER17runHipVariantImplILm256EEEvNSM_9VariantIDEEUllE2_lNS_4expt15ForallParamPackIJEEES6_SA_TnNSt9enable_ifIXaasr3std10is_base_ofINS5_10DirectBaseET4_EE5valuegtsrT5_10block_sizeLi0EEmE4typeELm256EEEvT1_T0_T2_T3_
	.globl	_ZN4RAJA6policy3hip4impl18forallp_hip_kernelINS1_8hip_execINS_17iteration_mapping6DirectENS_3hip11IndexGlobalILNS_9named_dimE0ELi256ELi0EEENS7_40AvoidDeviceMaxThreadOccupancyConcretizerINS7_34FractionOffsetOccupancyConcretizerINS_8FractionImLm1ELm1EEELln1EEEEELb1EEENS_9Iterators16numeric_iteratorIllPlEEZN8rajaperf9polybench16POLYBENCH_GEMVER17runHipVariantImplILm256EEEvNSM_9VariantIDEEUllE2_lNS_4expt15ForallParamPackIJEEES6_SA_TnNSt9enable_ifIXaasr3std10is_base_ofINS5_10DirectBaseET4_EE5valuegtsrT5_10block_sizeLi0EEmE4typeELm256EEEvT1_T0_T2_T3_
	.p2align	8
	.type	_ZN4RAJA6policy3hip4impl18forallp_hip_kernelINS1_8hip_execINS_17iteration_mapping6DirectENS_3hip11IndexGlobalILNS_9named_dimE0ELi256ELi0EEENS7_40AvoidDeviceMaxThreadOccupancyConcretizerINS7_34FractionOffsetOccupancyConcretizerINS_8FractionImLm1ELm1EEELln1EEEEELb1EEENS_9Iterators16numeric_iteratorIllPlEEZN8rajaperf9polybench16POLYBENCH_GEMVER17runHipVariantImplILm256EEEvNSM_9VariantIDEEUllE2_lNS_4expt15ForallParamPackIJEEES6_SA_TnNSt9enable_ifIXaasr3std10is_base_ofINS5_10DirectBaseET4_EE5valuegtsrT5_10block_sizeLi0EEmE4typeELm256EEEvT1_T0_T2_T3_,@function
_ZN4RAJA6policy3hip4impl18forallp_hip_kernelINS1_8hip_execINS_17iteration_mapping6DirectENS_3hip11IndexGlobalILNS_9named_dimE0ELi256ELi0EEENS7_40AvoidDeviceMaxThreadOccupancyConcretizerINS7_34FractionOffsetOccupancyConcretizerINS_8FractionImLm1ELm1EEELln1EEEEELb1EEENS_9Iterators16numeric_iteratorIllPlEEZN8rajaperf9polybench16POLYBENCH_GEMVER17runHipVariantImplILm256EEEvNSM_9VariantIDEEUllE2_lNS_4expt15ForallParamPackIJEEES6_SA_TnNSt9enable_ifIXaasr3std10is_base_ofINS5_10DirectBaseET4_EE5valuegtsrT5_10block_sizeLi0EEmE4typeELm256EEEvT1_T0_T2_T3_: ; @_ZN4RAJA6policy3hip4impl18forallp_hip_kernelINS1_8hip_execINS_17iteration_mapping6DirectENS_3hip11IndexGlobalILNS_9named_dimE0ELi256ELi0EEENS7_40AvoidDeviceMaxThreadOccupancyConcretizerINS7_34FractionOffsetOccupancyConcretizerINS_8FractionImLm1ELm1EEELln1EEEEELb1EEENS_9Iterators16numeric_iteratorIllPlEEZN8rajaperf9polybench16POLYBENCH_GEMVER17runHipVariantImplILm256EEEvNSM_9VariantIDEEUllE2_lNS_4expt15ForallParamPackIJEEES6_SA_TnNSt9enable_ifIXaasr3std10is_base_ofINS5_10DirectBaseET4_EE5valuegtsrT5_10block_sizeLi0EEmE4typeELm256EEEvT1_T0_T2_T3_
; %bb.0:
	s_load_b128 s[4:7], s[0:1], 0x50
	s_bfe_u32 s2, ttmp6, 0x4000c
	s_and_b32 s3, ttmp6, 15
	s_add_co_i32 s2, s2, 1
	s_getreg_b32 s8, hwreg(HW_REG_IB_STS2, 6, 4)
	s_mul_i32 s2, ttmp9, s2
	s_delay_alu instid0(SALU_CYCLE_1) | instskip(SKIP_3) | instid1(SALU_CYCLE_1)
	s_add_co_i32 s2, s3, s2
	s_cmp_eq_u32 s8, 0
	s_mov_b32 s3, 0
	s_cselect_b32 s2, ttmp9, s2
	s_lshl_b64 s[2:3], s[2:3], 8
	s_delay_alu instid0(SALU_CYCLE_1) | instskip(SKIP_2) | instid1(VALU_DEP_1)
	v_dual_mov_b32 v1, s3 :: v_dual_bitop2_b32 v0, s2, v0 bitop3:0x54
	s_mov_b32 s2, exec_lo
	s_wait_kmcnt 0x0
	v_cmpx_gt_i64_e64 s[6:7], v[0:1]
	s_cbranch_execz .LBB10_2
; %bb.1:
	s_clause 0x1
	s_load_b64 s[2:3], s[0:1], 0x28
	s_load_b64 s[6:7], s[0:1], 0x0
	v_add_nc_u64_e32 v[0:1], s[4:5], v[0:1]
	s_delay_alu instid0(VALU_DEP_1) | instskip(SKIP_1) | instid1(VALU_DEP_1)
	v_lshlrev_b64_e32 v[0:1], 3, v[0:1]
	s_wait_kmcnt 0x0
	v_add_nc_u64_e32 v[2:3], s[2:3], v[0:1]
	v_add_nc_u64_e32 v[0:1], s[6:7], v[0:1]
	global_load_b64 v[4:5], v[2:3], off
	global_load_b64 v[6:7], v[0:1], off
	s_wait_loadcnt 0x0
	v_add_f64_e32 v[2:3], v[4:5], v[6:7]
	global_store_b64 v[0:1], v[2:3], off
.LBB10_2:
	s_endpgm
	.section	.rodata,"a",@progbits
	.p2align	6, 0x0
	.amdhsa_kernel _ZN4RAJA6policy3hip4impl18forallp_hip_kernelINS1_8hip_execINS_17iteration_mapping6DirectENS_3hip11IndexGlobalILNS_9named_dimE0ELi256ELi0EEENS7_40AvoidDeviceMaxThreadOccupancyConcretizerINS7_34FractionOffsetOccupancyConcretizerINS_8FractionImLm1ELm1EEELln1EEEEELb1EEENS_9Iterators16numeric_iteratorIllPlEEZN8rajaperf9polybench16POLYBENCH_GEMVER17runHipVariantImplILm256EEEvNSM_9VariantIDEEUllE2_lNS_4expt15ForallParamPackIJEEES6_SA_TnNSt9enable_ifIXaasr3std10is_base_ofINS5_10DirectBaseET4_EE5valuegtsrT5_10block_sizeLi0EEmE4typeELm256EEEvT1_T0_T2_T3_
		.amdhsa_group_segment_fixed_size 0
		.amdhsa_private_segment_fixed_size 0
		.amdhsa_kernarg_size 100
		.amdhsa_user_sgpr_count 2
		.amdhsa_user_sgpr_dispatch_ptr 0
		.amdhsa_user_sgpr_queue_ptr 0
		.amdhsa_user_sgpr_kernarg_segment_ptr 1
		.amdhsa_user_sgpr_dispatch_id 0
		.amdhsa_user_sgpr_kernarg_preload_length 0
		.amdhsa_user_sgpr_kernarg_preload_offset 0
		.amdhsa_user_sgpr_private_segment_size 0
		.amdhsa_wavefront_size32 1
		.amdhsa_uses_dynamic_stack 0
		.amdhsa_enable_private_segment 0
		.amdhsa_system_sgpr_workgroup_id_x 1
		.amdhsa_system_sgpr_workgroup_id_y 0
		.amdhsa_system_sgpr_workgroup_id_z 0
		.amdhsa_system_sgpr_workgroup_info 0
		.amdhsa_system_vgpr_workitem_id 0
		.amdhsa_next_free_vgpr 8
		.amdhsa_next_free_sgpr 9
		.amdhsa_named_barrier_count 0
		.amdhsa_reserve_vcc 0
		.amdhsa_float_round_mode_32 0
		.amdhsa_float_round_mode_16_64 0
		.amdhsa_float_denorm_mode_32 3
		.amdhsa_float_denorm_mode_16_64 3
		.amdhsa_fp16_overflow 0
		.amdhsa_memory_ordered 1
		.amdhsa_forward_progress 1
		.amdhsa_inst_pref_size 2
		.amdhsa_round_robin_scheduling 0
		.amdhsa_exception_fp_ieee_invalid_op 0
		.amdhsa_exception_fp_denorm_src 0
		.amdhsa_exception_fp_ieee_div_zero 0
		.amdhsa_exception_fp_ieee_overflow 0
		.amdhsa_exception_fp_ieee_underflow 0
		.amdhsa_exception_fp_ieee_inexact 0
		.amdhsa_exception_int_div_zero 0
	.end_amdhsa_kernel
	.section	.text._ZN4RAJA6policy3hip4impl18forallp_hip_kernelINS1_8hip_execINS_17iteration_mapping6DirectENS_3hip11IndexGlobalILNS_9named_dimE0ELi256ELi0EEENS7_40AvoidDeviceMaxThreadOccupancyConcretizerINS7_34FractionOffsetOccupancyConcretizerINS_8FractionImLm1ELm1EEELln1EEEEELb1EEENS_9Iterators16numeric_iteratorIllPlEEZN8rajaperf9polybench16POLYBENCH_GEMVER17runHipVariantImplILm256EEEvNSM_9VariantIDEEUllE2_lNS_4expt15ForallParamPackIJEEES6_SA_TnNSt9enable_ifIXaasr3std10is_base_ofINS5_10DirectBaseET4_EE5valuegtsrT5_10block_sizeLi0EEmE4typeELm256EEEvT1_T0_T2_T3_,"axG",@progbits,_ZN4RAJA6policy3hip4impl18forallp_hip_kernelINS1_8hip_execINS_17iteration_mapping6DirectENS_3hip11IndexGlobalILNS_9named_dimE0ELi256ELi0EEENS7_40AvoidDeviceMaxThreadOccupancyConcretizerINS7_34FractionOffsetOccupancyConcretizerINS_8FractionImLm1ELm1EEELln1EEEEELb1EEENS_9Iterators16numeric_iteratorIllPlEEZN8rajaperf9polybench16POLYBENCH_GEMVER17runHipVariantImplILm256EEEvNSM_9VariantIDEEUllE2_lNS_4expt15ForallParamPackIJEEES6_SA_TnNSt9enable_ifIXaasr3std10is_base_ofINS5_10DirectBaseET4_EE5valuegtsrT5_10block_sizeLi0EEmE4typeELm256EEEvT1_T0_T2_T3_,comdat
.Lfunc_end10:
	.size	_ZN4RAJA6policy3hip4impl18forallp_hip_kernelINS1_8hip_execINS_17iteration_mapping6DirectENS_3hip11IndexGlobalILNS_9named_dimE0ELi256ELi0EEENS7_40AvoidDeviceMaxThreadOccupancyConcretizerINS7_34FractionOffsetOccupancyConcretizerINS_8FractionImLm1ELm1EEELln1EEEEELb1EEENS_9Iterators16numeric_iteratorIllPlEEZN8rajaperf9polybench16POLYBENCH_GEMVER17runHipVariantImplILm256EEEvNSM_9VariantIDEEUllE2_lNS_4expt15ForallParamPackIJEEES6_SA_TnNSt9enable_ifIXaasr3std10is_base_ofINS5_10DirectBaseET4_EE5valuegtsrT5_10block_sizeLi0EEmE4typeELm256EEEvT1_T0_T2_T3_, .Lfunc_end10-_ZN4RAJA6policy3hip4impl18forallp_hip_kernelINS1_8hip_execINS_17iteration_mapping6DirectENS_3hip11IndexGlobalILNS_9named_dimE0ELi256ELi0EEENS7_40AvoidDeviceMaxThreadOccupancyConcretizerINS7_34FractionOffsetOccupancyConcretizerINS_8FractionImLm1ELm1EEELln1EEEEELb1EEENS_9Iterators16numeric_iteratorIllPlEEZN8rajaperf9polybench16POLYBENCH_GEMVER17runHipVariantImplILm256EEEvNSM_9VariantIDEEUllE2_lNS_4expt15ForallParamPackIJEEES6_SA_TnNSt9enable_ifIXaasr3std10is_base_ofINS5_10DirectBaseET4_EE5valuegtsrT5_10block_sizeLi0EEmE4typeELm256EEEvT1_T0_T2_T3_
                                        ; -- End function
	.set _ZN4RAJA6policy3hip4impl18forallp_hip_kernelINS1_8hip_execINS_17iteration_mapping6DirectENS_3hip11IndexGlobalILNS_9named_dimE0ELi256ELi0EEENS7_40AvoidDeviceMaxThreadOccupancyConcretizerINS7_34FractionOffsetOccupancyConcretizerINS_8FractionImLm1ELm1EEELln1EEEEELb1EEENS_9Iterators16numeric_iteratorIllPlEEZN8rajaperf9polybench16POLYBENCH_GEMVER17runHipVariantImplILm256EEEvNSM_9VariantIDEEUllE2_lNS_4expt15ForallParamPackIJEEES6_SA_TnNSt9enable_ifIXaasr3std10is_base_ofINS5_10DirectBaseET4_EE5valuegtsrT5_10block_sizeLi0EEmE4typeELm256EEEvT1_T0_T2_T3_.num_vgpr, 8
	.set _ZN4RAJA6policy3hip4impl18forallp_hip_kernelINS1_8hip_execINS_17iteration_mapping6DirectENS_3hip11IndexGlobalILNS_9named_dimE0ELi256ELi0EEENS7_40AvoidDeviceMaxThreadOccupancyConcretizerINS7_34FractionOffsetOccupancyConcretizerINS_8FractionImLm1ELm1EEELln1EEEEELb1EEENS_9Iterators16numeric_iteratorIllPlEEZN8rajaperf9polybench16POLYBENCH_GEMVER17runHipVariantImplILm256EEEvNSM_9VariantIDEEUllE2_lNS_4expt15ForallParamPackIJEEES6_SA_TnNSt9enable_ifIXaasr3std10is_base_ofINS5_10DirectBaseET4_EE5valuegtsrT5_10block_sizeLi0EEmE4typeELm256EEEvT1_T0_T2_T3_.num_agpr, 0
	.set _ZN4RAJA6policy3hip4impl18forallp_hip_kernelINS1_8hip_execINS_17iteration_mapping6DirectENS_3hip11IndexGlobalILNS_9named_dimE0ELi256ELi0EEENS7_40AvoidDeviceMaxThreadOccupancyConcretizerINS7_34FractionOffsetOccupancyConcretizerINS_8FractionImLm1ELm1EEELln1EEEEELb1EEENS_9Iterators16numeric_iteratorIllPlEEZN8rajaperf9polybench16POLYBENCH_GEMVER17runHipVariantImplILm256EEEvNSM_9VariantIDEEUllE2_lNS_4expt15ForallParamPackIJEEES6_SA_TnNSt9enable_ifIXaasr3std10is_base_ofINS5_10DirectBaseET4_EE5valuegtsrT5_10block_sizeLi0EEmE4typeELm256EEEvT1_T0_T2_T3_.numbered_sgpr, 9
	.set _ZN4RAJA6policy3hip4impl18forallp_hip_kernelINS1_8hip_execINS_17iteration_mapping6DirectENS_3hip11IndexGlobalILNS_9named_dimE0ELi256ELi0EEENS7_40AvoidDeviceMaxThreadOccupancyConcretizerINS7_34FractionOffsetOccupancyConcretizerINS_8FractionImLm1ELm1EEELln1EEEEELb1EEENS_9Iterators16numeric_iteratorIllPlEEZN8rajaperf9polybench16POLYBENCH_GEMVER17runHipVariantImplILm256EEEvNSM_9VariantIDEEUllE2_lNS_4expt15ForallParamPackIJEEES6_SA_TnNSt9enable_ifIXaasr3std10is_base_ofINS5_10DirectBaseET4_EE5valuegtsrT5_10block_sizeLi0EEmE4typeELm256EEEvT1_T0_T2_T3_.num_named_barrier, 0
	.set _ZN4RAJA6policy3hip4impl18forallp_hip_kernelINS1_8hip_execINS_17iteration_mapping6DirectENS_3hip11IndexGlobalILNS_9named_dimE0ELi256ELi0EEENS7_40AvoidDeviceMaxThreadOccupancyConcretizerINS7_34FractionOffsetOccupancyConcretizerINS_8FractionImLm1ELm1EEELln1EEEEELb1EEENS_9Iterators16numeric_iteratorIllPlEEZN8rajaperf9polybench16POLYBENCH_GEMVER17runHipVariantImplILm256EEEvNSM_9VariantIDEEUllE2_lNS_4expt15ForallParamPackIJEEES6_SA_TnNSt9enable_ifIXaasr3std10is_base_ofINS5_10DirectBaseET4_EE5valuegtsrT5_10block_sizeLi0EEmE4typeELm256EEEvT1_T0_T2_T3_.private_seg_size, 0
	.set _ZN4RAJA6policy3hip4impl18forallp_hip_kernelINS1_8hip_execINS_17iteration_mapping6DirectENS_3hip11IndexGlobalILNS_9named_dimE0ELi256ELi0EEENS7_40AvoidDeviceMaxThreadOccupancyConcretizerINS7_34FractionOffsetOccupancyConcretizerINS_8FractionImLm1ELm1EEELln1EEEEELb1EEENS_9Iterators16numeric_iteratorIllPlEEZN8rajaperf9polybench16POLYBENCH_GEMVER17runHipVariantImplILm256EEEvNSM_9VariantIDEEUllE2_lNS_4expt15ForallParamPackIJEEES6_SA_TnNSt9enable_ifIXaasr3std10is_base_ofINS5_10DirectBaseET4_EE5valuegtsrT5_10block_sizeLi0EEmE4typeELm256EEEvT1_T0_T2_T3_.uses_vcc, 0
	.set _ZN4RAJA6policy3hip4impl18forallp_hip_kernelINS1_8hip_execINS_17iteration_mapping6DirectENS_3hip11IndexGlobalILNS_9named_dimE0ELi256ELi0EEENS7_40AvoidDeviceMaxThreadOccupancyConcretizerINS7_34FractionOffsetOccupancyConcretizerINS_8FractionImLm1ELm1EEELln1EEEEELb1EEENS_9Iterators16numeric_iteratorIllPlEEZN8rajaperf9polybench16POLYBENCH_GEMVER17runHipVariantImplILm256EEEvNSM_9VariantIDEEUllE2_lNS_4expt15ForallParamPackIJEEES6_SA_TnNSt9enable_ifIXaasr3std10is_base_ofINS5_10DirectBaseET4_EE5valuegtsrT5_10block_sizeLi0EEmE4typeELm256EEEvT1_T0_T2_T3_.uses_flat_scratch, 0
	.set _ZN4RAJA6policy3hip4impl18forallp_hip_kernelINS1_8hip_execINS_17iteration_mapping6DirectENS_3hip11IndexGlobalILNS_9named_dimE0ELi256ELi0EEENS7_40AvoidDeviceMaxThreadOccupancyConcretizerINS7_34FractionOffsetOccupancyConcretizerINS_8FractionImLm1ELm1EEELln1EEEEELb1EEENS_9Iterators16numeric_iteratorIllPlEEZN8rajaperf9polybench16POLYBENCH_GEMVER17runHipVariantImplILm256EEEvNSM_9VariantIDEEUllE2_lNS_4expt15ForallParamPackIJEEES6_SA_TnNSt9enable_ifIXaasr3std10is_base_ofINS5_10DirectBaseET4_EE5valuegtsrT5_10block_sizeLi0EEmE4typeELm256EEEvT1_T0_T2_T3_.has_dyn_sized_stack, 0
	.set _ZN4RAJA6policy3hip4impl18forallp_hip_kernelINS1_8hip_execINS_17iteration_mapping6DirectENS_3hip11IndexGlobalILNS_9named_dimE0ELi256ELi0EEENS7_40AvoidDeviceMaxThreadOccupancyConcretizerINS7_34FractionOffsetOccupancyConcretizerINS_8FractionImLm1ELm1EEELln1EEEEELb1EEENS_9Iterators16numeric_iteratorIllPlEEZN8rajaperf9polybench16POLYBENCH_GEMVER17runHipVariantImplILm256EEEvNSM_9VariantIDEEUllE2_lNS_4expt15ForallParamPackIJEEES6_SA_TnNSt9enable_ifIXaasr3std10is_base_ofINS5_10DirectBaseET4_EE5valuegtsrT5_10block_sizeLi0EEmE4typeELm256EEEvT1_T0_T2_T3_.has_recursion, 0
	.set _ZN4RAJA6policy3hip4impl18forallp_hip_kernelINS1_8hip_execINS_17iteration_mapping6DirectENS_3hip11IndexGlobalILNS_9named_dimE0ELi256ELi0EEENS7_40AvoidDeviceMaxThreadOccupancyConcretizerINS7_34FractionOffsetOccupancyConcretizerINS_8FractionImLm1ELm1EEELln1EEEEELb1EEENS_9Iterators16numeric_iteratorIllPlEEZN8rajaperf9polybench16POLYBENCH_GEMVER17runHipVariantImplILm256EEEvNSM_9VariantIDEEUllE2_lNS_4expt15ForallParamPackIJEEES6_SA_TnNSt9enable_ifIXaasr3std10is_base_ofINS5_10DirectBaseET4_EE5valuegtsrT5_10block_sizeLi0EEmE4typeELm256EEEvT1_T0_T2_T3_.has_indirect_call, 0
	.section	.AMDGPU.csdata,"",@progbits
; Kernel info:
; codeLenInByte = 184
; TotalNumSgprs: 9
; NumVgprs: 8
; ScratchSize: 0
; MemoryBound: 0
; FloatMode: 240
; IeeeMode: 1
; LDSByteSize: 0 bytes/workgroup (compile time only)
; SGPRBlocks: 0
; VGPRBlocks: 0
; NumSGPRsForWavesPerEU: 9
; NumVGPRsForWavesPerEU: 8
; NamedBarCnt: 0
; Occupancy: 16
; WaveLimiterHint : 0
; COMPUTE_PGM_RSRC2:SCRATCH_EN: 0
; COMPUTE_PGM_RSRC2:USER_SGPR: 2
; COMPUTE_PGM_RSRC2:TRAP_HANDLER: 0
; COMPUTE_PGM_RSRC2:TGID_X_EN: 1
; COMPUTE_PGM_RSRC2:TGID_Y_EN: 0
; COMPUTE_PGM_RSRC2:TGID_Z_EN: 0
; COMPUTE_PGM_RSRC2:TIDIG_COMP_CNT: 0
	.section	.text._ZN4RAJA8internal22HipKernelLauncherFixedILi256ENS0_8LoopDataIN4camp5tupleIJNS_4SpanINS_9Iterators16numeric_iteratorIllPlEElEESA_EEENS4_IJdEEENS3_9resources2v13HipEJZN8rajaperf9polybench16POLYBENCH_GEMVER17runHipVariantImplILm256EEEvNSG_9VariantIDEEUllRdE1_ZNSJ_ILm256EEEvSK_EUlllSL_E0_ZNSJ_ILm256EEEvSK_EUllSL_E2_EEENS0_24HipStatementListExecutorISP_NS3_4listIJNS_9statement3ForILl0ENS_6policy3hip11hip_indexerINS_17iteration_mapping6DirectELNS_23kernel_sync_requirementE0EJNS_3hip11IndexGlobalILNS_9named_dimE0ELi256ELi0EEEEEEJNSS_6LambdaILl0EJNSR_IJNS0_9LambdaArgINS0_16lambda_arg_seg_tELl0EEEEEENSR_IJNS16_INS0_18lambda_arg_param_tELl0EEEEEEEEENST_ILl1ENSU_10sequential8seq_execEJNS15_ILl1EJNSR_IJS18_NS16_IS17_Ll1EEEEEES1C_EEEEEENS15_ILl2EJS19_S1C_EEEEEEEEENS0_9LoopTypesINSR_IJvvEEES1O_EEEEEEvT0_,"axG",@progbits,_ZN4RAJA8internal22HipKernelLauncherFixedILi256ENS0_8LoopDataIN4camp5tupleIJNS_4SpanINS_9Iterators16numeric_iteratorIllPlEElEESA_EEENS4_IJdEEENS3_9resources2v13HipEJZN8rajaperf9polybench16POLYBENCH_GEMVER17runHipVariantImplILm256EEEvNSG_9VariantIDEEUllRdE1_ZNSJ_ILm256EEEvSK_EUlllSL_E0_ZNSJ_ILm256EEEvSK_EUllSL_E2_EEENS0_24HipStatementListExecutorISP_NS3_4listIJNS_9statement3ForILl0ENS_6policy3hip11hip_indexerINS_17iteration_mapping6DirectELNS_23kernel_sync_requirementE0EJNS_3hip11IndexGlobalILNS_9named_dimE0ELi256ELi0EEEEEEJNSS_6LambdaILl0EJNSR_IJNS0_9LambdaArgINS0_16lambda_arg_seg_tELl0EEEEEENSR_IJNS16_INS0_18lambda_arg_param_tELl0EEEEEEEEENST_ILl1ENSU_10sequential8seq_execEJNS15_ILl1EJNSR_IJS18_NS16_IS17_Ll1EEEEEES1C_EEEEEENS15_ILl2EJS19_S1C_EEEEEEEEENS0_9LoopTypesINSR_IJvvEEES1O_EEEEEEvT0_,comdat
	.protected	_ZN4RAJA8internal22HipKernelLauncherFixedILi256ENS0_8LoopDataIN4camp5tupleIJNS_4SpanINS_9Iterators16numeric_iteratorIllPlEElEESA_EEENS4_IJdEEENS3_9resources2v13HipEJZN8rajaperf9polybench16POLYBENCH_GEMVER17runHipVariantImplILm256EEEvNSG_9VariantIDEEUllRdE1_ZNSJ_ILm256EEEvSK_EUlllSL_E0_ZNSJ_ILm256EEEvSK_EUllSL_E2_EEENS0_24HipStatementListExecutorISP_NS3_4listIJNS_9statement3ForILl0ENS_6policy3hip11hip_indexerINS_17iteration_mapping6DirectELNS_23kernel_sync_requirementE0EJNS_3hip11IndexGlobalILNS_9named_dimE0ELi256ELi0EEEEEEJNSS_6LambdaILl0EJNSR_IJNS0_9LambdaArgINS0_16lambda_arg_seg_tELl0EEEEEENSR_IJNS16_INS0_18lambda_arg_param_tELl0EEEEEEEEENST_ILl1ENSU_10sequential8seq_execEJNS15_ILl1EJNSR_IJS18_NS16_IS17_Ll1EEEEEES1C_EEEEEENS15_ILl2EJS19_S1C_EEEEEEEEENS0_9LoopTypesINSR_IJvvEEES1O_EEEEEEvT0_ ; -- Begin function _ZN4RAJA8internal22HipKernelLauncherFixedILi256ENS0_8LoopDataIN4camp5tupleIJNS_4SpanINS_9Iterators16numeric_iteratorIllPlEElEESA_EEENS4_IJdEEENS3_9resources2v13HipEJZN8rajaperf9polybench16POLYBENCH_GEMVER17runHipVariantImplILm256EEEvNSG_9VariantIDEEUllRdE1_ZNSJ_ILm256EEEvSK_EUlllSL_E0_ZNSJ_ILm256EEEvSK_EUllSL_E2_EEENS0_24HipStatementListExecutorISP_NS3_4listIJNS_9statement3ForILl0ENS_6policy3hip11hip_indexerINS_17iteration_mapping6DirectELNS_23kernel_sync_requirementE0EJNS_3hip11IndexGlobalILNS_9named_dimE0ELi256ELi0EEEEEEJNSS_6LambdaILl0EJNSR_IJNS0_9LambdaArgINS0_16lambda_arg_seg_tELl0EEEEEENSR_IJNS16_INS0_18lambda_arg_param_tELl0EEEEEEEEENST_ILl1ENSU_10sequential8seq_execEJNS15_ILl1EJNSR_IJS18_NS16_IS17_Ll1EEEEEES1C_EEEEEENS15_ILl2EJS19_S1C_EEEEEEEEENS0_9LoopTypesINSR_IJvvEEES1O_EEEEEEvT0_
	.globl	_ZN4RAJA8internal22HipKernelLauncherFixedILi256ENS0_8LoopDataIN4camp5tupleIJNS_4SpanINS_9Iterators16numeric_iteratorIllPlEElEESA_EEENS4_IJdEEENS3_9resources2v13HipEJZN8rajaperf9polybench16POLYBENCH_GEMVER17runHipVariantImplILm256EEEvNSG_9VariantIDEEUllRdE1_ZNSJ_ILm256EEEvSK_EUlllSL_E0_ZNSJ_ILm256EEEvSK_EUllSL_E2_EEENS0_24HipStatementListExecutorISP_NS3_4listIJNS_9statement3ForILl0ENS_6policy3hip11hip_indexerINS_17iteration_mapping6DirectELNS_23kernel_sync_requirementE0EJNS_3hip11IndexGlobalILNS_9named_dimE0ELi256ELi0EEEEEEJNSS_6LambdaILl0EJNSR_IJNS0_9LambdaArgINS0_16lambda_arg_seg_tELl0EEEEEENSR_IJNS16_INS0_18lambda_arg_param_tELl0EEEEEEEEENST_ILl1ENSU_10sequential8seq_execEJNS15_ILl1EJNSR_IJS18_NS16_IS17_Ll1EEEEEES1C_EEEEEENS15_ILl2EJS19_S1C_EEEEEEEEENS0_9LoopTypesINSR_IJvvEEES1O_EEEEEEvT0_
	.p2align	8
	.type	_ZN4RAJA8internal22HipKernelLauncherFixedILi256ENS0_8LoopDataIN4camp5tupleIJNS_4SpanINS_9Iterators16numeric_iteratorIllPlEElEESA_EEENS4_IJdEEENS3_9resources2v13HipEJZN8rajaperf9polybench16POLYBENCH_GEMVER17runHipVariantImplILm256EEEvNSG_9VariantIDEEUllRdE1_ZNSJ_ILm256EEEvSK_EUlllSL_E0_ZNSJ_ILm256EEEvSK_EUllSL_E2_EEENS0_24HipStatementListExecutorISP_NS3_4listIJNS_9statement3ForILl0ENS_6policy3hip11hip_indexerINS_17iteration_mapping6DirectELNS_23kernel_sync_requirementE0EJNS_3hip11IndexGlobalILNS_9named_dimE0ELi256ELi0EEEEEEJNSS_6LambdaILl0EJNSR_IJNS0_9LambdaArgINS0_16lambda_arg_seg_tELl0EEEEEENSR_IJNS16_INS0_18lambda_arg_param_tELl0EEEEEEEEENST_ILl1ENSU_10sequential8seq_execEJNS15_ILl1EJNSR_IJS18_NS16_IS17_Ll1EEEEEES1C_EEEEEENS15_ILl2EJS19_S1C_EEEEEEEEENS0_9LoopTypesINSR_IJvvEEES1O_EEEEEEvT0_,@function
_ZN4RAJA8internal22HipKernelLauncherFixedILi256ENS0_8LoopDataIN4camp5tupleIJNS_4SpanINS_9Iterators16numeric_iteratorIllPlEElEESA_EEENS4_IJdEEENS3_9resources2v13HipEJZN8rajaperf9polybench16POLYBENCH_GEMVER17runHipVariantImplILm256EEEvNSG_9VariantIDEEUllRdE1_ZNSJ_ILm256EEEvSK_EUlllSL_E0_ZNSJ_ILm256EEEvSK_EUllSL_E2_EEENS0_24HipStatementListExecutorISP_NS3_4listIJNS_9statement3ForILl0ENS_6policy3hip11hip_indexerINS_17iteration_mapping6DirectELNS_23kernel_sync_requirementE0EJNS_3hip11IndexGlobalILNS_9named_dimE0ELi256ELi0EEEEEEJNSS_6LambdaILl0EJNSR_IJNS0_9LambdaArgINS0_16lambda_arg_seg_tELl0EEEEEENSR_IJNS16_INS0_18lambda_arg_param_tELl0EEEEEEEEENST_ILl1ENSU_10sequential8seq_execEJNS15_ILl1EJNSR_IJS18_NS16_IS17_Ll1EEEEEES1C_EEEEEENS15_ILl2EJS19_S1C_EEEEEEEEENS0_9LoopTypesINSR_IJvvEEES1O_EEEEEEvT0_: ; @_ZN4RAJA8internal22HipKernelLauncherFixedILi256ENS0_8LoopDataIN4camp5tupleIJNS_4SpanINS_9Iterators16numeric_iteratorIllPlEElEESA_EEENS4_IJdEEENS3_9resources2v13HipEJZN8rajaperf9polybench16POLYBENCH_GEMVER17runHipVariantImplILm256EEEvNSG_9VariantIDEEUllRdE1_ZNSJ_ILm256EEEvSK_EUlllSL_E0_ZNSJ_ILm256EEEvSK_EUllSL_E2_EEENS0_24HipStatementListExecutorISP_NS3_4listIJNS_9statement3ForILl0ENS_6policy3hip11hip_indexerINS_17iteration_mapping6DirectELNS_23kernel_sync_requirementE0EJNS_3hip11IndexGlobalILNS_9named_dimE0ELi256ELi0EEEEEEJNSS_6LambdaILl0EJNSR_IJNS0_9LambdaArgINS0_16lambda_arg_seg_tELl0EEEEEENSR_IJNS16_INS0_18lambda_arg_param_tELl0EEEEEEEEENST_ILl1ENSU_10sequential8seq_execEJNS15_ILl1EJNSR_IJS18_NS16_IS17_Ll1EEEEEES1C_EEEEEENS15_ILl2EJS19_S1C_EEEEEEEEENS0_9LoopTypesINSR_IJvvEEES1O_EEEEEEvT0_
; %bb.0:
	s_clause 0x1
	s_load_b256 s[4:11], s[0:1], 0x0
	s_load_b64 s[12:13], s[0:1], 0x20
	s_bfe_u32 s2, ttmp6, 0x4000c
	s_and_b32 s3, ttmp6, 15
	s_add_co_i32 s2, s2, 1
	s_getreg_b32 s14, hwreg(HW_REG_IB_STS2, 6, 4)
	s_mul_i32 s2, ttmp9, s2
	s_delay_alu instid0(SALU_CYCLE_1) | instskip(SKIP_3) | instid1(SALU_CYCLE_1)
	s_add_co_i32 s2, s3, s2
	s_cmp_eq_u32 s14, 0
	s_mov_b32 s3, 0
	s_cselect_b32 s2, ttmp9, s2
	s_lshl_b64 s[2:3], s[2:3], 8
	s_delay_alu instid0(SALU_CYCLE_1) | instskip(SKIP_3) | instid1(VALU_DEP_2)
	v_dual_mov_b32 v1, s3 :: v_dual_bitop2_b32 v0, s2, v0 bitop3:0x54
	s_wait_kmcnt 0x0
	s_sub_nc_u64 s[2:3], s[6:7], s[4:5]
	v_mov_b64_e32 v[2:3], s[12:13]
	v_cmp_gt_i64_e64 s2, s[2:3], v[0:1]
	s_and_saveexec_b32 s3, s2
	s_cbranch_execz .LBB11_2
; %bb.1:
	s_load_b64 s[6:7], s[0:1], 0x38
	s_wait_kmcnt 0x0
	v_lshl_add_u64 v[2:3], v[0:1], 3, s[6:7]
	s_delay_alu instid0(VALU_DEP_1)
	v_lshl_add_u64 v[2:3], s[4:5], 3, v[2:3]
	global_load_b64 v[2:3], v[2:3], off
.LBB11_2:
	s_wait_xcnt 0x0
	s_or_b32 exec_lo, exec_lo, s3
	s_sub_nc_u64 s[6:7], s[10:11], s[8:9]
	s_delay_alu instid0(SALU_CYCLE_1)
	v_cmp_lt_i64_e64 s3, s[6:7], 1
	s_and_b32 vcc_lo, exec_lo, s3
	s_cbranch_vccnz .LBB11_7
; %bb.3:
	s_load_b64 s[10:11], s[0:1], 0x80
	v_add_nc_u64_e32 v[4:5], s[4:5], v[0:1]
	s_lshl_b64 s[8:9], s[8:9], 3
	s_wait_kmcnt 0x0
	s_delay_alu instid0(VALU_DEP_1)
	v_mul_u64_e32 v[4:5], s[10:11], v[4:5]
	s_clause 0x1
	s_load_b128 s[12:15], s[0:1], 0x60
	s_load_b64 s[10:11], s[0:1], 0xb0
	s_wait_kmcnt 0x0
	s_add_nc_u64 s[14:15], s[14:15], s[8:9]
	s_add_nc_u64 s[8:9], s[10:11], s[8:9]
	s_mov_b64 s[10:11], 0
	s_delay_alu instid0(VALU_DEP_1)
	v_lshl_add_u64 v[4:5], v[4:5], 3, s[14:15]
	s_branch .LBB11_5
.LBB11_4:                               ;   in Loop: Header=BB11_5 Depth=1
	s_or_b32 exec_lo, exec_lo, s3
	s_add_nc_u64 s[10:11], s[10:11], 1
	v_add_nc_u64_e32 v[4:5], 8, v[4:5]
	v_cmp_lt_i64_e64 s3, s[10:11], s[6:7]
	s_add_nc_u64 s[8:9], s[8:9], 8
	s_and_b32 vcc_lo, exec_lo, s3
	s_cbranch_vccz .LBB11_7
.LBB11_5:                               ; =>This Inner Loop Header: Depth=1
	s_and_saveexec_b32 s3, s2
	s_cbranch_execz .LBB11_4
; %bb.6:                                ;   in Loop: Header=BB11_5 Depth=1
	global_load_b64 v[6:7], v[4:5], off
	s_load_b64 s[14:15], s[8:9], 0x0
	s_wait_loadcnt 0x0
	v_mul_f64_e32 v[6:7], s[12:13], v[6:7]
	s_wait_kmcnt 0x0
	s_delay_alu instid0(VALU_DEP_1)
	v_fmac_f64_e32 v[2:3], s[14:15], v[6:7]
	s_branch .LBB11_4
.LBB11_7:
	s_load_b64 s[0:1], s[0:1], 0xd8
	s_and_saveexec_b32 s3, s2
	s_cbranch_execz .LBB11_9
; %bb.8:
	s_wait_kmcnt 0x0
	v_lshl_add_u64 v[0:1], v[0:1], 3, s[0:1]
	s_delay_alu instid0(VALU_DEP_1)
	v_lshl_add_u64 v[0:1], s[4:5], 3, v[0:1]
	s_wait_loadcnt 0x0
	global_store_b64 v[0:1], v[2:3], off
.LBB11_9:
	s_endpgm
	.section	.rodata,"a",@progbits
	.p2align	6, 0x0
	.amdhsa_kernel _ZN4RAJA8internal22HipKernelLauncherFixedILi256ENS0_8LoopDataIN4camp5tupleIJNS_4SpanINS_9Iterators16numeric_iteratorIllPlEElEESA_EEENS4_IJdEEENS3_9resources2v13HipEJZN8rajaperf9polybench16POLYBENCH_GEMVER17runHipVariantImplILm256EEEvNSG_9VariantIDEEUllRdE1_ZNSJ_ILm256EEEvSK_EUlllSL_E0_ZNSJ_ILm256EEEvSK_EUllSL_E2_EEENS0_24HipStatementListExecutorISP_NS3_4listIJNS_9statement3ForILl0ENS_6policy3hip11hip_indexerINS_17iteration_mapping6DirectELNS_23kernel_sync_requirementE0EJNS_3hip11IndexGlobalILNS_9named_dimE0ELi256ELi0EEEEEEJNSS_6LambdaILl0EJNSR_IJNS0_9LambdaArgINS0_16lambda_arg_seg_tELl0EEEEEENSR_IJNS16_INS0_18lambda_arg_param_tELl0EEEEEEEEENST_ILl1ENSU_10sequential8seq_execEJNS15_ILl1EJNSR_IJS18_NS16_IS17_Ll1EEEEEES1C_EEEEEENS15_ILl2EJS19_S1C_EEEEEEEEENS0_9LoopTypesINSR_IJvvEEES1O_EEEEEEvT0_
		.amdhsa_group_segment_fixed_size 0
		.amdhsa_private_segment_fixed_size 0
		.amdhsa_kernarg_size 280
		.amdhsa_user_sgpr_count 2
		.amdhsa_user_sgpr_dispatch_ptr 0
		.amdhsa_user_sgpr_queue_ptr 0
		.amdhsa_user_sgpr_kernarg_segment_ptr 1
		.amdhsa_user_sgpr_dispatch_id 0
		.amdhsa_user_sgpr_kernarg_preload_length 0
		.amdhsa_user_sgpr_kernarg_preload_offset 0
		.amdhsa_user_sgpr_private_segment_size 0
		.amdhsa_wavefront_size32 1
		.amdhsa_uses_dynamic_stack 0
		.amdhsa_enable_private_segment 0
		.amdhsa_system_sgpr_workgroup_id_x 1
		.amdhsa_system_sgpr_workgroup_id_y 0
		.amdhsa_system_sgpr_workgroup_id_z 0
		.amdhsa_system_sgpr_workgroup_info 0
		.amdhsa_system_vgpr_workitem_id 0
		.amdhsa_next_free_vgpr 8
		.amdhsa_next_free_sgpr 16
		.amdhsa_named_barrier_count 0
		.amdhsa_reserve_vcc 1
		.amdhsa_float_round_mode_32 0
		.amdhsa_float_round_mode_16_64 0
		.amdhsa_float_denorm_mode_32 3
		.amdhsa_float_denorm_mode_16_64 3
		.amdhsa_fp16_overflow 0
		.amdhsa_memory_ordered 1
		.amdhsa_forward_progress 1
		.amdhsa_inst_pref_size 4
		.amdhsa_round_robin_scheduling 0
		.amdhsa_exception_fp_ieee_invalid_op 0
		.amdhsa_exception_fp_denorm_src 0
		.amdhsa_exception_fp_ieee_div_zero 0
		.amdhsa_exception_fp_ieee_overflow 0
		.amdhsa_exception_fp_ieee_underflow 0
		.amdhsa_exception_fp_ieee_inexact 0
		.amdhsa_exception_int_div_zero 0
	.end_amdhsa_kernel
	.section	.text._ZN4RAJA8internal22HipKernelLauncherFixedILi256ENS0_8LoopDataIN4camp5tupleIJNS_4SpanINS_9Iterators16numeric_iteratorIllPlEElEESA_EEENS4_IJdEEENS3_9resources2v13HipEJZN8rajaperf9polybench16POLYBENCH_GEMVER17runHipVariantImplILm256EEEvNSG_9VariantIDEEUllRdE1_ZNSJ_ILm256EEEvSK_EUlllSL_E0_ZNSJ_ILm256EEEvSK_EUllSL_E2_EEENS0_24HipStatementListExecutorISP_NS3_4listIJNS_9statement3ForILl0ENS_6policy3hip11hip_indexerINS_17iteration_mapping6DirectELNS_23kernel_sync_requirementE0EJNS_3hip11IndexGlobalILNS_9named_dimE0ELi256ELi0EEEEEEJNSS_6LambdaILl0EJNSR_IJNS0_9LambdaArgINS0_16lambda_arg_seg_tELl0EEEEEENSR_IJNS16_INS0_18lambda_arg_param_tELl0EEEEEEEEENST_ILl1ENSU_10sequential8seq_execEJNS15_ILl1EJNSR_IJS18_NS16_IS17_Ll1EEEEEES1C_EEEEEENS15_ILl2EJS19_S1C_EEEEEEEEENS0_9LoopTypesINSR_IJvvEEES1O_EEEEEEvT0_,"axG",@progbits,_ZN4RAJA8internal22HipKernelLauncherFixedILi256ENS0_8LoopDataIN4camp5tupleIJNS_4SpanINS_9Iterators16numeric_iteratorIllPlEElEESA_EEENS4_IJdEEENS3_9resources2v13HipEJZN8rajaperf9polybench16POLYBENCH_GEMVER17runHipVariantImplILm256EEEvNSG_9VariantIDEEUllRdE1_ZNSJ_ILm256EEEvSK_EUlllSL_E0_ZNSJ_ILm256EEEvSK_EUllSL_E2_EEENS0_24HipStatementListExecutorISP_NS3_4listIJNS_9statement3ForILl0ENS_6policy3hip11hip_indexerINS_17iteration_mapping6DirectELNS_23kernel_sync_requirementE0EJNS_3hip11IndexGlobalILNS_9named_dimE0ELi256ELi0EEEEEEJNSS_6LambdaILl0EJNSR_IJNS0_9LambdaArgINS0_16lambda_arg_seg_tELl0EEEEEENSR_IJNS16_INS0_18lambda_arg_param_tELl0EEEEEEEEENST_ILl1ENSU_10sequential8seq_execEJNS15_ILl1EJNSR_IJS18_NS16_IS17_Ll1EEEEEES1C_EEEEEENS15_ILl2EJS19_S1C_EEEEEEEEENS0_9LoopTypesINSR_IJvvEEES1O_EEEEEEvT0_,comdat
.Lfunc_end11:
	.size	_ZN4RAJA8internal22HipKernelLauncherFixedILi256ENS0_8LoopDataIN4camp5tupleIJNS_4SpanINS_9Iterators16numeric_iteratorIllPlEElEESA_EEENS4_IJdEEENS3_9resources2v13HipEJZN8rajaperf9polybench16POLYBENCH_GEMVER17runHipVariantImplILm256EEEvNSG_9VariantIDEEUllRdE1_ZNSJ_ILm256EEEvSK_EUlllSL_E0_ZNSJ_ILm256EEEvSK_EUllSL_E2_EEENS0_24HipStatementListExecutorISP_NS3_4listIJNS_9statement3ForILl0ENS_6policy3hip11hip_indexerINS_17iteration_mapping6DirectELNS_23kernel_sync_requirementE0EJNS_3hip11IndexGlobalILNS_9named_dimE0ELi256ELi0EEEEEEJNSS_6LambdaILl0EJNSR_IJNS0_9LambdaArgINS0_16lambda_arg_seg_tELl0EEEEEENSR_IJNS16_INS0_18lambda_arg_param_tELl0EEEEEEEEENST_ILl1ENSU_10sequential8seq_execEJNS15_ILl1EJNSR_IJS18_NS16_IS17_Ll1EEEEEES1C_EEEEEENS15_ILl2EJS19_S1C_EEEEEEEEENS0_9LoopTypesINSR_IJvvEEES1O_EEEEEEvT0_, .Lfunc_end11-_ZN4RAJA8internal22HipKernelLauncherFixedILi256ENS0_8LoopDataIN4camp5tupleIJNS_4SpanINS_9Iterators16numeric_iteratorIllPlEElEESA_EEENS4_IJdEEENS3_9resources2v13HipEJZN8rajaperf9polybench16POLYBENCH_GEMVER17runHipVariantImplILm256EEEvNSG_9VariantIDEEUllRdE1_ZNSJ_ILm256EEEvSK_EUlllSL_E0_ZNSJ_ILm256EEEvSK_EUllSL_E2_EEENS0_24HipStatementListExecutorISP_NS3_4listIJNS_9statement3ForILl0ENS_6policy3hip11hip_indexerINS_17iteration_mapping6DirectELNS_23kernel_sync_requirementE0EJNS_3hip11IndexGlobalILNS_9named_dimE0ELi256ELi0EEEEEEJNSS_6LambdaILl0EJNSR_IJNS0_9LambdaArgINS0_16lambda_arg_seg_tELl0EEEEEENSR_IJNS16_INS0_18lambda_arg_param_tELl0EEEEEEEEENST_ILl1ENSU_10sequential8seq_execEJNS15_ILl1EJNSR_IJS18_NS16_IS17_Ll1EEEEEES1C_EEEEEENS15_ILl2EJS19_S1C_EEEEEEEEENS0_9LoopTypesINSR_IJvvEEES1O_EEEEEEvT0_
                                        ; -- End function
	.set _ZN4RAJA8internal22HipKernelLauncherFixedILi256ENS0_8LoopDataIN4camp5tupleIJNS_4SpanINS_9Iterators16numeric_iteratorIllPlEElEESA_EEENS4_IJdEEENS3_9resources2v13HipEJZN8rajaperf9polybench16POLYBENCH_GEMVER17runHipVariantImplILm256EEEvNSG_9VariantIDEEUllRdE1_ZNSJ_ILm256EEEvSK_EUlllSL_E0_ZNSJ_ILm256EEEvSK_EUllSL_E2_EEENS0_24HipStatementListExecutorISP_NS3_4listIJNS_9statement3ForILl0ENS_6policy3hip11hip_indexerINS_17iteration_mapping6DirectELNS_23kernel_sync_requirementE0EJNS_3hip11IndexGlobalILNS_9named_dimE0ELi256ELi0EEEEEEJNSS_6LambdaILl0EJNSR_IJNS0_9LambdaArgINS0_16lambda_arg_seg_tELl0EEEEEENSR_IJNS16_INS0_18lambda_arg_param_tELl0EEEEEEEEENST_ILl1ENSU_10sequential8seq_execEJNS15_ILl1EJNSR_IJS18_NS16_IS17_Ll1EEEEEES1C_EEEEEENS15_ILl2EJS19_S1C_EEEEEEEEENS0_9LoopTypesINSR_IJvvEEES1O_EEEEEEvT0_.num_vgpr, 8
	.set _ZN4RAJA8internal22HipKernelLauncherFixedILi256ENS0_8LoopDataIN4camp5tupleIJNS_4SpanINS_9Iterators16numeric_iteratorIllPlEElEESA_EEENS4_IJdEEENS3_9resources2v13HipEJZN8rajaperf9polybench16POLYBENCH_GEMVER17runHipVariantImplILm256EEEvNSG_9VariantIDEEUllRdE1_ZNSJ_ILm256EEEvSK_EUlllSL_E0_ZNSJ_ILm256EEEvSK_EUllSL_E2_EEENS0_24HipStatementListExecutorISP_NS3_4listIJNS_9statement3ForILl0ENS_6policy3hip11hip_indexerINS_17iteration_mapping6DirectELNS_23kernel_sync_requirementE0EJNS_3hip11IndexGlobalILNS_9named_dimE0ELi256ELi0EEEEEEJNSS_6LambdaILl0EJNSR_IJNS0_9LambdaArgINS0_16lambda_arg_seg_tELl0EEEEEENSR_IJNS16_INS0_18lambda_arg_param_tELl0EEEEEEEEENST_ILl1ENSU_10sequential8seq_execEJNS15_ILl1EJNSR_IJS18_NS16_IS17_Ll1EEEEEES1C_EEEEEENS15_ILl2EJS19_S1C_EEEEEEEEENS0_9LoopTypesINSR_IJvvEEES1O_EEEEEEvT0_.num_agpr, 0
	.set _ZN4RAJA8internal22HipKernelLauncherFixedILi256ENS0_8LoopDataIN4camp5tupleIJNS_4SpanINS_9Iterators16numeric_iteratorIllPlEElEESA_EEENS4_IJdEEENS3_9resources2v13HipEJZN8rajaperf9polybench16POLYBENCH_GEMVER17runHipVariantImplILm256EEEvNSG_9VariantIDEEUllRdE1_ZNSJ_ILm256EEEvSK_EUlllSL_E0_ZNSJ_ILm256EEEvSK_EUllSL_E2_EEENS0_24HipStatementListExecutorISP_NS3_4listIJNS_9statement3ForILl0ENS_6policy3hip11hip_indexerINS_17iteration_mapping6DirectELNS_23kernel_sync_requirementE0EJNS_3hip11IndexGlobalILNS_9named_dimE0ELi256ELi0EEEEEEJNSS_6LambdaILl0EJNSR_IJNS0_9LambdaArgINS0_16lambda_arg_seg_tELl0EEEEEENSR_IJNS16_INS0_18lambda_arg_param_tELl0EEEEEEEEENST_ILl1ENSU_10sequential8seq_execEJNS15_ILl1EJNSR_IJS18_NS16_IS17_Ll1EEEEEES1C_EEEEEENS15_ILl2EJS19_S1C_EEEEEEEEENS0_9LoopTypesINSR_IJvvEEES1O_EEEEEEvT0_.numbered_sgpr, 16
	.set _ZN4RAJA8internal22HipKernelLauncherFixedILi256ENS0_8LoopDataIN4camp5tupleIJNS_4SpanINS_9Iterators16numeric_iteratorIllPlEElEESA_EEENS4_IJdEEENS3_9resources2v13HipEJZN8rajaperf9polybench16POLYBENCH_GEMVER17runHipVariantImplILm256EEEvNSG_9VariantIDEEUllRdE1_ZNSJ_ILm256EEEvSK_EUlllSL_E0_ZNSJ_ILm256EEEvSK_EUllSL_E2_EEENS0_24HipStatementListExecutorISP_NS3_4listIJNS_9statement3ForILl0ENS_6policy3hip11hip_indexerINS_17iteration_mapping6DirectELNS_23kernel_sync_requirementE0EJNS_3hip11IndexGlobalILNS_9named_dimE0ELi256ELi0EEEEEEJNSS_6LambdaILl0EJNSR_IJNS0_9LambdaArgINS0_16lambda_arg_seg_tELl0EEEEEENSR_IJNS16_INS0_18lambda_arg_param_tELl0EEEEEEEEENST_ILl1ENSU_10sequential8seq_execEJNS15_ILl1EJNSR_IJS18_NS16_IS17_Ll1EEEEEES1C_EEEEEENS15_ILl2EJS19_S1C_EEEEEEEEENS0_9LoopTypesINSR_IJvvEEES1O_EEEEEEvT0_.num_named_barrier, 0
	.set _ZN4RAJA8internal22HipKernelLauncherFixedILi256ENS0_8LoopDataIN4camp5tupleIJNS_4SpanINS_9Iterators16numeric_iteratorIllPlEElEESA_EEENS4_IJdEEENS3_9resources2v13HipEJZN8rajaperf9polybench16POLYBENCH_GEMVER17runHipVariantImplILm256EEEvNSG_9VariantIDEEUllRdE1_ZNSJ_ILm256EEEvSK_EUlllSL_E0_ZNSJ_ILm256EEEvSK_EUllSL_E2_EEENS0_24HipStatementListExecutorISP_NS3_4listIJNS_9statement3ForILl0ENS_6policy3hip11hip_indexerINS_17iteration_mapping6DirectELNS_23kernel_sync_requirementE0EJNS_3hip11IndexGlobalILNS_9named_dimE0ELi256ELi0EEEEEEJNSS_6LambdaILl0EJNSR_IJNS0_9LambdaArgINS0_16lambda_arg_seg_tELl0EEEEEENSR_IJNS16_INS0_18lambda_arg_param_tELl0EEEEEEEEENST_ILl1ENSU_10sequential8seq_execEJNS15_ILl1EJNSR_IJS18_NS16_IS17_Ll1EEEEEES1C_EEEEEENS15_ILl2EJS19_S1C_EEEEEEEEENS0_9LoopTypesINSR_IJvvEEES1O_EEEEEEvT0_.private_seg_size, 0
	.set _ZN4RAJA8internal22HipKernelLauncherFixedILi256ENS0_8LoopDataIN4camp5tupleIJNS_4SpanINS_9Iterators16numeric_iteratorIllPlEElEESA_EEENS4_IJdEEENS3_9resources2v13HipEJZN8rajaperf9polybench16POLYBENCH_GEMVER17runHipVariantImplILm256EEEvNSG_9VariantIDEEUllRdE1_ZNSJ_ILm256EEEvSK_EUlllSL_E0_ZNSJ_ILm256EEEvSK_EUllSL_E2_EEENS0_24HipStatementListExecutorISP_NS3_4listIJNS_9statement3ForILl0ENS_6policy3hip11hip_indexerINS_17iteration_mapping6DirectELNS_23kernel_sync_requirementE0EJNS_3hip11IndexGlobalILNS_9named_dimE0ELi256ELi0EEEEEEJNSS_6LambdaILl0EJNSR_IJNS0_9LambdaArgINS0_16lambda_arg_seg_tELl0EEEEEENSR_IJNS16_INS0_18lambda_arg_param_tELl0EEEEEEEEENST_ILl1ENSU_10sequential8seq_execEJNS15_ILl1EJNSR_IJS18_NS16_IS17_Ll1EEEEEES1C_EEEEEENS15_ILl2EJS19_S1C_EEEEEEEEENS0_9LoopTypesINSR_IJvvEEES1O_EEEEEEvT0_.uses_vcc, 1
	.set _ZN4RAJA8internal22HipKernelLauncherFixedILi256ENS0_8LoopDataIN4camp5tupleIJNS_4SpanINS_9Iterators16numeric_iteratorIllPlEElEESA_EEENS4_IJdEEENS3_9resources2v13HipEJZN8rajaperf9polybench16POLYBENCH_GEMVER17runHipVariantImplILm256EEEvNSG_9VariantIDEEUllRdE1_ZNSJ_ILm256EEEvSK_EUlllSL_E0_ZNSJ_ILm256EEEvSK_EUllSL_E2_EEENS0_24HipStatementListExecutorISP_NS3_4listIJNS_9statement3ForILl0ENS_6policy3hip11hip_indexerINS_17iteration_mapping6DirectELNS_23kernel_sync_requirementE0EJNS_3hip11IndexGlobalILNS_9named_dimE0ELi256ELi0EEEEEEJNSS_6LambdaILl0EJNSR_IJNS0_9LambdaArgINS0_16lambda_arg_seg_tELl0EEEEEENSR_IJNS16_INS0_18lambda_arg_param_tELl0EEEEEEEEENST_ILl1ENSU_10sequential8seq_execEJNS15_ILl1EJNSR_IJS18_NS16_IS17_Ll1EEEEEES1C_EEEEEENS15_ILl2EJS19_S1C_EEEEEEEEENS0_9LoopTypesINSR_IJvvEEES1O_EEEEEEvT0_.uses_flat_scratch, 0
	.set _ZN4RAJA8internal22HipKernelLauncherFixedILi256ENS0_8LoopDataIN4camp5tupleIJNS_4SpanINS_9Iterators16numeric_iteratorIllPlEElEESA_EEENS4_IJdEEENS3_9resources2v13HipEJZN8rajaperf9polybench16POLYBENCH_GEMVER17runHipVariantImplILm256EEEvNSG_9VariantIDEEUllRdE1_ZNSJ_ILm256EEEvSK_EUlllSL_E0_ZNSJ_ILm256EEEvSK_EUllSL_E2_EEENS0_24HipStatementListExecutorISP_NS3_4listIJNS_9statement3ForILl0ENS_6policy3hip11hip_indexerINS_17iteration_mapping6DirectELNS_23kernel_sync_requirementE0EJNS_3hip11IndexGlobalILNS_9named_dimE0ELi256ELi0EEEEEEJNSS_6LambdaILl0EJNSR_IJNS0_9LambdaArgINS0_16lambda_arg_seg_tELl0EEEEEENSR_IJNS16_INS0_18lambda_arg_param_tELl0EEEEEEEEENST_ILl1ENSU_10sequential8seq_execEJNS15_ILl1EJNSR_IJS18_NS16_IS17_Ll1EEEEEES1C_EEEEEENS15_ILl2EJS19_S1C_EEEEEEEEENS0_9LoopTypesINSR_IJvvEEES1O_EEEEEEvT0_.has_dyn_sized_stack, 0
	.set _ZN4RAJA8internal22HipKernelLauncherFixedILi256ENS0_8LoopDataIN4camp5tupleIJNS_4SpanINS_9Iterators16numeric_iteratorIllPlEElEESA_EEENS4_IJdEEENS3_9resources2v13HipEJZN8rajaperf9polybench16POLYBENCH_GEMVER17runHipVariantImplILm256EEEvNSG_9VariantIDEEUllRdE1_ZNSJ_ILm256EEEvSK_EUlllSL_E0_ZNSJ_ILm256EEEvSK_EUllSL_E2_EEENS0_24HipStatementListExecutorISP_NS3_4listIJNS_9statement3ForILl0ENS_6policy3hip11hip_indexerINS_17iteration_mapping6DirectELNS_23kernel_sync_requirementE0EJNS_3hip11IndexGlobalILNS_9named_dimE0ELi256ELi0EEEEEEJNSS_6LambdaILl0EJNSR_IJNS0_9LambdaArgINS0_16lambda_arg_seg_tELl0EEEEEENSR_IJNS16_INS0_18lambda_arg_param_tELl0EEEEEEEEENST_ILl1ENSU_10sequential8seq_execEJNS15_ILl1EJNSR_IJS18_NS16_IS17_Ll1EEEEEES1C_EEEEEENS15_ILl2EJS19_S1C_EEEEEEEEENS0_9LoopTypesINSR_IJvvEEES1O_EEEEEEvT0_.has_recursion, 0
	.set _ZN4RAJA8internal22HipKernelLauncherFixedILi256ENS0_8LoopDataIN4camp5tupleIJNS_4SpanINS_9Iterators16numeric_iteratorIllPlEElEESA_EEENS4_IJdEEENS3_9resources2v13HipEJZN8rajaperf9polybench16POLYBENCH_GEMVER17runHipVariantImplILm256EEEvNSG_9VariantIDEEUllRdE1_ZNSJ_ILm256EEEvSK_EUlllSL_E0_ZNSJ_ILm256EEEvSK_EUllSL_E2_EEENS0_24HipStatementListExecutorISP_NS3_4listIJNS_9statement3ForILl0ENS_6policy3hip11hip_indexerINS_17iteration_mapping6DirectELNS_23kernel_sync_requirementE0EJNS_3hip11IndexGlobalILNS_9named_dimE0ELi256ELi0EEEEEEJNSS_6LambdaILl0EJNSR_IJNS0_9LambdaArgINS0_16lambda_arg_seg_tELl0EEEEEENSR_IJNS16_INS0_18lambda_arg_param_tELl0EEEEEEEEENST_ILl1ENSU_10sequential8seq_execEJNS15_ILl1EJNSR_IJS18_NS16_IS17_Ll1EEEEEES1C_EEEEEENS15_ILl2EJS19_S1C_EEEEEEEEENS0_9LoopTypesINSR_IJvvEEES1O_EEEEEEvT0_.has_indirect_call, 0
	.section	.AMDGPU.csdata,"",@progbits
; Kernel info:
; codeLenInByte = 412
; TotalNumSgprs: 18
; NumVgprs: 8
; ScratchSize: 0
; MemoryBound: 1
; FloatMode: 240
; IeeeMode: 1
; LDSByteSize: 0 bytes/workgroup (compile time only)
; SGPRBlocks: 0
; VGPRBlocks: 0
; NumSGPRsForWavesPerEU: 18
; NumVGPRsForWavesPerEU: 8
; NamedBarCnt: 0
; Occupancy: 16
; WaveLimiterHint : 1
; COMPUTE_PGM_RSRC2:SCRATCH_EN: 0
; COMPUTE_PGM_RSRC2:USER_SGPR: 2
; COMPUTE_PGM_RSRC2:TRAP_HANDLER: 0
; COMPUTE_PGM_RSRC2:TGID_X_EN: 1
; COMPUTE_PGM_RSRC2:TGID_Y_EN: 0
; COMPUTE_PGM_RSRC2:TGID_Z_EN: 0
; COMPUTE_PGM_RSRC2:TIDIG_COMP_CNT: 0
	.section	.AMDGPU.gpr_maximums,"",@progbits
	.set amdgpu.max_num_vgpr, 0
	.set amdgpu.max_num_agpr, 0
	.set amdgpu.max_num_sgpr, 0
	.section	.AMDGPU.csdata,"",@progbits
	.type	__hip_cuid_5982023497ac02c1,@object ; @__hip_cuid_5982023497ac02c1
	.section	.bss,"aw",@nobits
	.globl	__hip_cuid_5982023497ac02c1
__hip_cuid_5982023497ac02c1:
	.byte	0                               ; 0x0
	.size	__hip_cuid_5982023497ac02c1, 1

	.ident	"AMD clang version 22.0.0git (https://github.com/RadeonOpenCompute/llvm-project roc-7.2.4 26084 f58b06dce1f9c15707c5f808fd002e18c2accf7e)"
	.section	".note.GNU-stack","",@progbits
	.addrsig
	.addrsig_sym __hip_cuid_5982023497ac02c1
	.amdgpu_metadata
---
amdhsa.kernels:
  - .args:
      - .address_space:  global
        .offset:         0
        .size:           8
        .value_kind:     global_buffer
      - .address_space:  global
        .offset:         8
        .size:           8
        .value_kind:     global_buffer
      - .address_space:  global
        .offset:         16
        .size:           8
        .value_kind:     global_buffer
      - .address_space:  global
        .offset:         24
        .size:           8
        .value_kind:     global_buffer
      - .address_space:  global
        .offset:         32
        .size:           8
        .value_kind:     global_buffer
      - .offset:         40
        .size:           8
        .value_kind:     by_value
    .group_segment_fixed_size: 0
    .kernarg_segment_align: 8
    .kernarg_segment_size: 48
    .language:       OpenCL C
    .language_version:
      - 2
      - 0
    .max_flat_workgroup_size: 256
    .name:           _ZN8rajaperf9polybench13poly_gemver_1ILm32ELm8EEEvPdS2_S2_S2_S2_l
    .private_segment_fixed_size: 0
    .sgpr_count:     16
    .sgpr_spill_count: 0
    .symbol:         _ZN8rajaperf9polybench13poly_gemver_1ILm32ELm8EEEvPdS2_S2_S2_S2_l.kd
    .uniform_work_group_size: 1
    .uses_dynamic_stack: false
    .vgpr_count:     16
    .vgpr_spill_count: 0
    .wavefront_size: 32
  - .args:
      - .address_space:  global
        .offset:         0
        .size:           8
        .value_kind:     global_buffer
      - .address_space:  global
        .offset:         8
        .size:           8
        .value_kind:     global_buffer
      - .address_space:  global
        .offset:         16
        .size:           8
        .value_kind:     global_buffer
      - .offset:         24
        .size:           8
        .value_kind:     by_value
      - .offset:         32
        .size:           8
        .value_kind:     by_value
    .group_segment_fixed_size: 0
    .kernarg_segment_align: 8
    .kernarg_segment_size: 40
    .language:       OpenCL C
    .language_version:
      - 2
      - 0
    .max_flat_workgroup_size: 256
    .name:           _ZN8rajaperf9polybench13poly_gemver_2ILm256EEEvPdS2_S2_dl
    .private_segment_fixed_size: 0
    .sgpr_count:     12
    .sgpr_spill_count: 0
    .symbol:         _ZN8rajaperf9polybench13poly_gemver_2ILm256EEEvPdS2_S2_dl.kd
    .uniform_work_group_size: 1
    .uses_dynamic_stack: false
    .vgpr_count:     8
    .vgpr_spill_count: 0
    .wavefront_size: 32
  - .args:
      - .address_space:  global
        .offset:         0
        .size:           8
        .value_kind:     global_buffer
      - .address_space:  global
        .offset:         8
        .size:           8
        .value_kind:     global_buffer
      - .offset:         16
        .size:           8
        .value_kind:     by_value
    .group_segment_fixed_size: 0
    .kernarg_segment_align: 8
    .kernarg_segment_size: 24
    .language:       OpenCL C
    .language_version:
      - 2
      - 0
    .max_flat_workgroup_size: 256
    .name:           _ZN8rajaperf9polybench13poly_gemver_3ILm256EEEvPdS2_l
    .private_segment_fixed_size: 0
    .sgpr_count:     9
    .sgpr_spill_count: 0
    .symbol:         _ZN8rajaperf9polybench13poly_gemver_3ILm256EEEvPdS2_l.kd
    .uniform_work_group_size: 1
    .uses_dynamic_stack: false
    .vgpr_count:     8
    .vgpr_spill_count: 0
    .wavefront_size: 32
  - .args:
      - .address_space:  global
        .offset:         0
        .size:           8
        .value_kind:     global_buffer
      - .address_space:  global
        .offset:         8
        .size:           8
        .value_kind:     global_buffer
      - .address_space:  global
        .offset:         16
        .size:           8
        .value_kind:     global_buffer
      - .offset:         24
        .size:           8
        .value_kind:     by_value
      - .offset:         32
        .size:           8
        .value_kind:     by_value
    .group_segment_fixed_size: 0
    .kernarg_segment_align: 8
    .kernarg_segment_size: 40
    .language:       OpenCL C
    .language_version:
      - 2
      - 0
    .max_flat_workgroup_size: 256
    .name:           _ZN8rajaperf9polybench13poly_gemver_4ILm256EEEvPdS2_S2_dl
    .private_segment_fixed_size: 0
    .sgpr_count:     12
    .sgpr_spill_count: 0
    .symbol:         _ZN8rajaperf9polybench13poly_gemver_4ILm256EEEvPdS2_S2_dl.kd
    .uniform_work_group_size: 1
    .uses_dynamic_stack: false
    .vgpr_count:     8
    .vgpr_spill_count: 0
    .wavefront_size: 32
  - .args:
      - .offset:         0
        .size:           8
        .value_kind:     by_value
      - .offset:         8
        .size:           48
        .value_kind:     by_value
    .group_segment_fixed_size: 0
    .kernarg_segment_align: 8
    .kernarg_segment_size: 56
    .language:       OpenCL C
    .language_version:
      - 2
      - 0
    .max_flat_workgroup_size: 256
    .name:           _ZN8rajaperf9polybench17poly_gemver_1_lamILm32ELm8EZNS0_16POLYBENCH_GEMVER17runHipVariantImplILm256EEEvNS_9VariantIDEEUlllE_EEvlT1_
    .private_segment_fixed_size: 0
    .sgpr_count:     14
    .sgpr_spill_count: 0
    .symbol:         _ZN8rajaperf9polybench17poly_gemver_1_lamILm32ELm8EZNS0_16POLYBENCH_GEMVER17runHipVariantImplILm256EEEvNS_9VariantIDEEUlllE_EEvlT1_.kd
    .uniform_work_group_size: 1
    .uses_dynamic_stack: false
    .vgpr_count:     16
    .vgpr_spill_count: 0
    .wavefront_size: 32
  - .args:
      - .offset:         0
        .size:           8
        .value_kind:     by_value
      - .offset:         8
        .size:           40
        .value_kind:     by_value
    .group_segment_fixed_size: 0
    .kernarg_segment_align: 8
    .kernarg_segment_size: 48
    .language:       OpenCL C
    .language_version:
      - 2
      - 0
    .max_flat_workgroup_size: 256
    .name:           _ZN8rajaperf9polybench19poly_gemver_234_lamILm256EZNS0_16POLYBENCH_GEMVER17runHipVariantImplILm256EEEvNS_9VariantIDEEUllE_EEvlT0_
    .private_segment_fixed_size: 0
    .sgpr_count:     15
    .sgpr_spill_count: 0
    .symbol:         _ZN8rajaperf9polybench19poly_gemver_234_lamILm256EZNS0_16POLYBENCH_GEMVER17runHipVariantImplILm256EEEvNS_9VariantIDEEUllE_EEvlT0_.kd
    .uniform_work_group_size: 1
    .uses_dynamic_stack: false
    .vgpr_count:     8
    .vgpr_spill_count: 0
    .wavefront_size: 32
  - .args:
      - .offset:         0
        .size:           8
        .value_kind:     by_value
      - .offset:         8
        .size:           16
        .value_kind:     by_value
    .group_segment_fixed_size: 0
    .kernarg_segment_align: 8
    .kernarg_segment_size: 24
    .language:       OpenCL C
    .language_version:
      - 2
      - 0
    .max_flat_workgroup_size: 256
    .name:           _ZN8rajaperf9polybench19poly_gemver_234_lamILm256EZNS0_16POLYBENCH_GEMVER17runHipVariantImplILm256EEEvNS_9VariantIDEEUllE0_EEvlT0_
    .private_segment_fixed_size: 0
    .sgpr_count:     10
    .sgpr_spill_count: 0
    .symbol:         _ZN8rajaperf9polybench19poly_gemver_234_lamILm256EZNS0_16POLYBENCH_GEMVER17runHipVariantImplILm256EEEvNS_9VariantIDEEUllE0_EEvlT0_.kd
    .uniform_work_group_size: 1
    .uses_dynamic_stack: false
    .vgpr_count:     8
    .vgpr_spill_count: 0
    .wavefront_size: 32
  - .args:
      - .offset:         0
        .size:           8
        .value_kind:     by_value
      - .offset:         8
        .size:           40
        .value_kind:     by_value
    .group_segment_fixed_size: 0
    .kernarg_segment_align: 8
    .kernarg_segment_size: 48
    .language:       OpenCL C
    .language_version:
      - 2
      - 0
    .max_flat_workgroup_size: 256
    .name:           _ZN8rajaperf9polybench19poly_gemver_234_lamILm256EZNS0_16POLYBENCH_GEMVER17runHipVariantImplILm256EEEvNS_9VariantIDEEUllE1_EEvlT0_
    .private_segment_fixed_size: 0
    .sgpr_count:     14
    .sgpr_spill_count: 0
    .symbol:         _ZN8rajaperf9polybench19poly_gemver_234_lamILm256EZNS0_16POLYBENCH_GEMVER17runHipVariantImplILm256EEEvNS_9VariantIDEEUllE1_EEvlT0_.kd
    .uniform_work_group_size: 1
    .uses_dynamic_stack: false
    .vgpr_count:     8
    .vgpr_spill_count: 0
    .wavefront_size: 32
  - .args:
      - .offset:         0
        .size:           312
        .value_kind:     by_value
    .group_segment_fixed_size: 0
    .kernarg_segment_align: 8
    .kernarg_segment_size: 312
    .language:       OpenCL C
    .language_version:
      - 2
      - 0
    .max_flat_workgroup_size: 256
    .name:           _ZN4RAJA8internal22HipKernelLauncherFixedILi256ENS0_8LoopDataIN4camp5tupleIJNS_4SpanINS_9Iterators16numeric_iteratorIllPlEElEESA_EEENS4_IJEEENS3_9resources2v13HipEJZN8rajaperf9polybench16POLYBENCH_GEMVER17runHipVariantImplILm256EEEvNSG_9VariantIDEEUlllE0_EEENS0_24HipStatementListExecutorISM_NS3_4listIJNS_9statement3ForILl0ENS_6policy3hip11hip_indexerINS_17iteration_mapping6DirectELNS_23kernel_sync_requirementE0EJNS_3hip11IndexGlobalILNS_9named_dimE1ELi8ELi0EEEEEEJNSQ_ILl1ENST_ISV_LSW_0EJNSY_ILSZ_0ELi32ELi0EEEEEEJNSP_6LambdaILl0EJEEEEEEEEEEEENS0_9LoopTypesINSO_IJvvEEES1A_EEEEEEvT0_
    .private_segment_fixed_size: 0
    .sgpr_count:     16
    .sgpr_spill_count: 0
    .symbol:         _ZN4RAJA8internal22HipKernelLauncherFixedILi256ENS0_8LoopDataIN4camp5tupleIJNS_4SpanINS_9Iterators16numeric_iteratorIllPlEElEESA_EEENS4_IJEEENS3_9resources2v13HipEJZN8rajaperf9polybench16POLYBENCH_GEMVER17runHipVariantImplILm256EEEvNSG_9VariantIDEEUlllE0_EEENS0_24HipStatementListExecutorISM_NS3_4listIJNS_9statement3ForILl0ENS_6policy3hip11hip_indexerINS_17iteration_mapping6DirectELNS_23kernel_sync_requirementE0EJNS_3hip11IndexGlobalILNS_9named_dimE1ELi8ELi0EEEEEEJNSQ_ILl1ENST_ISV_LSW_0EJNSY_ILSZ_0ELi32ELi0EEEEEEJNSP_6LambdaILl0EJEEEEEEEEEEEENS0_9LoopTypesINSO_IJvvEEES1A_EEEEEEvT0_.kd
    .uniform_work_group_size: 1
    .uses_dynamic_stack: false
    .vgpr_count:     16
    .vgpr_spill_count: 0
    .wavefront_size: 32
  - .args:
      - .offset:         0
        .size:           240
        .value_kind:     by_value
    .group_segment_fixed_size: 0
    .kernarg_segment_align: 8
    .kernarg_segment_size: 240
    .language:       OpenCL C
    .language_version:
      - 2
      - 0
    .max_flat_workgroup_size: 256
    .name:           _ZN4RAJA8internal22HipKernelLauncherFixedILi256ENS0_8LoopDataIN4camp5tupleIJNS_4SpanINS_9Iterators16numeric_iteratorIllPlEElEESA_EEENS4_IJdEEENS3_9resources2v13HipEJZN8rajaperf9polybench16POLYBENCH_GEMVER17runHipVariantImplILm256EEEvNSG_9VariantIDEEUllRdE_ZNSJ_ILm256EEEvSK_EUlllSL_E_ZNSJ_ILm256EEEvSK_EUllSL_E0_EEENS0_24HipStatementListExecutorISP_NS3_4listIJNS_9statement3ForILl0ENS_6policy3hip11hip_indexerINS_17iteration_mapping6DirectELNS_23kernel_sync_requirementE0EJNS_3hip11IndexGlobalILNS_9named_dimE0ELi256ELi0EEEEEEJNSS_6LambdaILl0EJNSR_IJNS0_9LambdaArgINS0_16lambda_arg_seg_tELl0EEEEEENSR_IJNS16_INS0_18lambda_arg_param_tELl0EEEEEEEEENST_ILl1ENSU_10sequential8seq_execEJNS15_ILl1EJNSR_IJS18_NS16_IS17_Ll1EEEEEES1C_EEEEEENS15_ILl2EJS19_S1C_EEEEEEEEENS0_9LoopTypesINSR_IJvvEEES1O_EEEEEEvT0_
    .private_segment_fixed_size: 0
    .sgpr_count:     24
    .sgpr_spill_count: 0
    .symbol:         _ZN4RAJA8internal22HipKernelLauncherFixedILi256ENS0_8LoopDataIN4camp5tupleIJNS_4SpanINS_9Iterators16numeric_iteratorIllPlEElEESA_EEENS4_IJdEEENS3_9resources2v13HipEJZN8rajaperf9polybench16POLYBENCH_GEMVER17runHipVariantImplILm256EEEvNSG_9VariantIDEEUllRdE_ZNSJ_ILm256EEEvSK_EUlllSL_E_ZNSJ_ILm256EEEvSK_EUllSL_E0_EEENS0_24HipStatementListExecutorISP_NS3_4listIJNS_9statement3ForILl0ENS_6policy3hip11hip_indexerINS_17iteration_mapping6DirectELNS_23kernel_sync_requirementE0EJNS_3hip11IndexGlobalILNS_9named_dimE0ELi256ELi0EEEEEEJNSS_6LambdaILl0EJNSR_IJNS0_9LambdaArgINS0_16lambda_arg_seg_tELl0EEEEEENSR_IJNS16_INS0_18lambda_arg_param_tELl0EEEEEEEEENST_ILl1ENSU_10sequential8seq_execEJNS15_ILl1EJNSR_IJS18_NS16_IS17_Ll1EEEEEES1C_EEEEEENS15_ILl2EJS19_S1C_EEEEEEEEENS0_9LoopTypesINSR_IJvvEEES1O_EEEEEEvT0_.kd
    .uniform_work_group_size: 1
    .uses_dynamic_stack: false
    .vgpr_count:     8
    .vgpr_spill_count: 0
    .wavefront_size: 32
  - .args:
      - .offset:         0
        .size:           80
        .value_kind:     by_value
      - .offset:         80
        .size:           8
        .value_kind:     by_value
      - .offset:         88
        .size:           8
        .value_kind:     by_value
      - .offset:         96
        .size:           1
        .value_kind:     by_value
    .group_segment_fixed_size: 0
    .kernarg_segment_align: 8
    .kernarg_segment_size: 100
    .language:       OpenCL C
    .language_version:
      - 2
      - 0
    .max_flat_workgroup_size: 256
    .name:           _ZN4RAJA6policy3hip4impl18forallp_hip_kernelINS1_8hip_execINS_17iteration_mapping6DirectENS_3hip11IndexGlobalILNS_9named_dimE0ELi256ELi0EEENS7_40AvoidDeviceMaxThreadOccupancyConcretizerINS7_34FractionOffsetOccupancyConcretizerINS_8FractionImLm1ELm1EEELln1EEEEELb1EEENS_9Iterators16numeric_iteratorIllPlEEZN8rajaperf9polybench16POLYBENCH_GEMVER17runHipVariantImplILm256EEEvNSM_9VariantIDEEUllE2_lNS_4expt15ForallParamPackIJEEES6_SA_TnNSt9enable_ifIXaasr3std10is_base_ofINS5_10DirectBaseET4_EE5valuegtsrT5_10block_sizeLi0EEmE4typeELm256EEEvT1_T0_T2_T3_
    .private_segment_fixed_size: 0
    .sgpr_count:     9
    .sgpr_spill_count: 0
    .symbol:         _ZN4RAJA6policy3hip4impl18forallp_hip_kernelINS1_8hip_execINS_17iteration_mapping6DirectENS_3hip11IndexGlobalILNS_9named_dimE0ELi256ELi0EEENS7_40AvoidDeviceMaxThreadOccupancyConcretizerINS7_34FractionOffsetOccupancyConcretizerINS_8FractionImLm1ELm1EEELln1EEEEELb1EEENS_9Iterators16numeric_iteratorIllPlEEZN8rajaperf9polybench16POLYBENCH_GEMVER17runHipVariantImplILm256EEEvNSM_9VariantIDEEUllE2_lNS_4expt15ForallParamPackIJEEES6_SA_TnNSt9enable_ifIXaasr3std10is_base_ofINS5_10DirectBaseET4_EE5valuegtsrT5_10block_sizeLi0EEmE4typeELm256EEEvT1_T0_T2_T3_.kd
    .uniform_work_group_size: 1
    .uses_dynamic_stack: false
    .vgpr_count:     8
    .vgpr_spill_count: 0
    .wavefront_size: 32
  - .args:
      - .offset:         0
        .size:           280
        .value_kind:     by_value
    .group_segment_fixed_size: 0
    .kernarg_segment_align: 8
    .kernarg_segment_size: 280
    .language:       OpenCL C
    .language_version:
      - 2
      - 0
    .max_flat_workgroup_size: 256
    .name:           _ZN4RAJA8internal22HipKernelLauncherFixedILi256ENS0_8LoopDataIN4camp5tupleIJNS_4SpanINS_9Iterators16numeric_iteratorIllPlEElEESA_EEENS4_IJdEEENS3_9resources2v13HipEJZN8rajaperf9polybench16POLYBENCH_GEMVER17runHipVariantImplILm256EEEvNSG_9VariantIDEEUllRdE1_ZNSJ_ILm256EEEvSK_EUlllSL_E0_ZNSJ_ILm256EEEvSK_EUllSL_E2_EEENS0_24HipStatementListExecutorISP_NS3_4listIJNS_9statement3ForILl0ENS_6policy3hip11hip_indexerINS_17iteration_mapping6DirectELNS_23kernel_sync_requirementE0EJNS_3hip11IndexGlobalILNS_9named_dimE0ELi256ELi0EEEEEEJNSS_6LambdaILl0EJNSR_IJNS0_9LambdaArgINS0_16lambda_arg_seg_tELl0EEEEEENSR_IJNS16_INS0_18lambda_arg_param_tELl0EEEEEEEEENST_ILl1ENSU_10sequential8seq_execEJNS15_ILl1EJNSR_IJS18_NS16_IS17_Ll1EEEEEES1C_EEEEEENS15_ILl2EJS19_S1C_EEEEEEEEENS0_9LoopTypesINSR_IJvvEEES1O_EEEEEEvT0_
    .private_segment_fixed_size: 0
    .sgpr_count:     18
    .sgpr_spill_count: 0
    .symbol:         _ZN4RAJA8internal22HipKernelLauncherFixedILi256ENS0_8LoopDataIN4camp5tupleIJNS_4SpanINS_9Iterators16numeric_iteratorIllPlEElEESA_EEENS4_IJdEEENS3_9resources2v13HipEJZN8rajaperf9polybench16POLYBENCH_GEMVER17runHipVariantImplILm256EEEvNSG_9VariantIDEEUllRdE1_ZNSJ_ILm256EEEvSK_EUlllSL_E0_ZNSJ_ILm256EEEvSK_EUllSL_E2_EEENS0_24HipStatementListExecutorISP_NS3_4listIJNS_9statement3ForILl0ENS_6policy3hip11hip_indexerINS_17iteration_mapping6DirectELNS_23kernel_sync_requirementE0EJNS_3hip11IndexGlobalILNS_9named_dimE0ELi256ELi0EEEEEEJNSS_6LambdaILl0EJNSR_IJNS0_9LambdaArgINS0_16lambda_arg_seg_tELl0EEEEEENSR_IJNS16_INS0_18lambda_arg_param_tELl0EEEEEEEEENST_ILl1ENSU_10sequential8seq_execEJNS15_ILl1EJNSR_IJS18_NS16_IS17_Ll1EEEEEES1C_EEEEEENS15_ILl2EJS19_S1C_EEEEEEEEENS0_9LoopTypesINSR_IJvvEEES1O_EEEEEEvT0_.kd
    .uniform_work_group_size: 1
    .uses_dynamic_stack: false
    .vgpr_count:     8
    .vgpr_spill_count: 0
    .wavefront_size: 32
amdhsa.target:   amdgcn-amd-amdhsa--gfx1250
amdhsa.version:
  - 1
  - 2
...

	.end_amdgpu_metadata
